;; amdgpu-corpus repo=ROCm/rocFFT kind=compiled arch=gfx906 opt=O3
	.text
	.amdgcn_target "amdgcn-amd-amdhsa--gfx906"
	.amdhsa_code_object_version 6
	.protected	fft_rtc_fwd_len289_factors_17_17_wgs_119_tpt_17_halfLds_sp_op_CI_CI_unitstride_sbrr_dirReg ; -- Begin function fft_rtc_fwd_len289_factors_17_17_wgs_119_tpt_17_halfLds_sp_op_CI_CI_unitstride_sbrr_dirReg
	.globl	fft_rtc_fwd_len289_factors_17_17_wgs_119_tpt_17_halfLds_sp_op_CI_CI_unitstride_sbrr_dirReg
	.p2align	8
	.type	fft_rtc_fwd_len289_factors_17_17_wgs_119_tpt_17_halfLds_sp_op_CI_CI_unitstride_sbrr_dirReg,@function
fft_rtc_fwd_len289_factors_17_17_wgs_119_tpt_17_halfLds_sp_op_CI_CI_unitstride_sbrr_dirReg: ; @fft_rtc_fwd_len289_factors_17_17_wgs_119_tpt_17_halfLds_sp_op_CI_CI_unitstride_sbrr_dirReg
; %bb.0:
	v_mul_u32_u24_e32 v1, 0xf10, v0
	s_load_dwordx4 s[8:11], s[4:5], 0x58
	s_load_dwordx4 s[12:15], s[4:5], 0x0
	;; [unrolled: 1-line block ×3, first 2 shown]
	v_lshrrev_b32_e32 v1, 16, v1
	v_mad_u64_u32 v[27:28], s[0:1], s6, 7, v[1:2]
	v_mov_b32_e32 v3, 0
	s_waitcnt lgkmcnt(0)
	v_cmp_lt_u64_e64 s[0:1], s[14:15], 2
	v_mov_b32_e32 v8, 0
	v_mov_b32_e32 v28, v3
	;; [unrolled: 1-line block ×5, first 2 shown]
	s_and_b64 vcc, exec, s[0:1]
	v_mov_b32_e32 v2, v9
	v_mov_b32_e32 v6, v28
	s_cbranch_vccnz .LBB0_8
; %bb.1:
	s_load_dwordx2 s[0:1], s[4:5], 0x10
	s_add_u32 s2, s18, 8
	s_addc_u32 s3, s19, 0
	s_add_u32 s6, s16, 8
	s_addc_u32 s7, s17, 0
	v_mov_b32_e32 v8, 0
	s_waitcnt lgkmcnt(0)
	s_add_u32 s20, s0, 8
	v_mov_b32_e32 v9, 0
	v_mov_b32_e32 v1, v8
	;; [unrolled: 1-line block ×3, first 2 shown]
	s_addc_u32 s21, s1, 0
	s_mov_b64 s[22:23], 1
	v_mov_b32_e32 v2, v9
	v_mov_b32_e32 v11, v28
.LBB0_2:                                ; =>This Inner Loop Header: Depth=1
	s_load_dwordx2 s[24:25], s[20:21], 0x0
                                        ; implicit-def: $vgpr5_vgpr6
	s_waitcnt lgkmcnt(0)
	v_or_b32_e32 v4, s25, v11
	v_cmp_ne_u64_e32 vcc, 0, v[3:4]
	s_and_saveexec_b64 s[0:1], vcc
	s_xor_b64 s[26:27], exec, s[0:1]
	s_cbranch_execz .LBB0_4
; %bb.3:                                ;   in Loop: Header=BB0_2 Depth=1
	v_cvt_f32_u32_e32 v4, s24
	v_cvt_f32_u32_e32 v5, s25
	s_sub_u32 s0, 0, s24
	s_subb_u32 s1, 0, s25
	v_mac_f32_e32 v4, 0x4f800000, v5
	v_rcp_f32_e32 v4, v4
	v_mul_f32_e32 v4, 0x5f7ffffc, v4
	v_mul_f32_e32 v5, 0x2f800000, v4
	v_trunc_f32_e32 v5, v5
	v_mac_f32_e32 v4, 0xcf800000, v5
	v_cvt_u32_f32_e32 v5, v5
	v_cvt_u32_f32_e32 v4, v4
	v_mul_lo_u32 v6, s0, v5
	v_mul_hi_u32 v7, s0, v4
	v_mul_lo_u32 v13, s1, v4
	v_mul_lo_u32 v12, s0, v4
	v_add_u32_e32 v6, v7, v6
	v_add_u32_e32 v6, v6, v13
	v_mul_hi_u32 v7, v4, v12
	v_mul_lo_u32 v13, v4, v6
	v_mul_hi_u32 v15, v4, v6
	v_mul_hi_u32 v14, v5, v12
	v_mul_lo_u32 v12, v5, v12
	v_mul_hi_u32 v16, v5, v6
	v_add_co_u32_e32 v7, vcc, v7, v13
	v_addc_co_u32_e32 v13, vcc, 0, v15, vcc
	v_mul_lo_u32 v6, v5, v6
	v_add_co_u32_e32 v7, vcc, v7, v12
	v_addc_co_u32_e32 v7, vcc, v13, v14, vcc
	v_addc_co_u32_e32 v12, vcc, 0, v16, vcc
	v_add_co_u32_e32 v6, vcc, v7, v6
	v_addc_co_u32_e32 v7, vcc, 0, v12, vcc
	v_add_co_u32_e32 v4, vcc, v4, v6
	v_addc_co_u32_e32 v5, vcc, v5, v7, vcc
	v_mul_lo_u32 v6, s0, v5
	v_mul_hi_u32 v7, s0, v4
	v_mul_lo_u32 v12, s1, v4
	v_mul_lo_u32 v13, s0, v4
	v_add_u32_e32 v6, v7, v6
	v_add_u32_e32 v6, v6, v12
	v_mul_lo_u32 v14, v4, v6
	v_mul_hi_u32 v15, v4, v13
	v_mul_hi_u32 v16, v4, v6
	;; [unrolled: 1-line block ×3, first 2 shown]
	v_mul_lo_u32 v13, v5, v13
	v_mul_hi_u32 v7, v5, v6
	v_add_co_u32_e32 v14, vcc, v15, v14
	v_addc_co_u32_e32 v15, vcc, 0, v16, vcc
	v_mul_lo_u32 v6, v5, v6
	v_add_co_u32_e32 v13, vcc, v14, v13
	v_addc_co_u32_e32 v12, vcc, v15, v12, vcc
	v_addc_co_u32_e32 v7, vcc, 0, v7, vcc
	v_add_co_u32_e32 v6, vcc, v12, v6
	v_addc_co_u32_e32 v7, vcc, 0, v7, vcc
	v_add_co_u32_e32 v6, vcc, v4, v6
	v_addc_co_u32_e32 v7, vcc, v5, v7, vcc
	v_mad_u64_u32 v[4:5], s[0:1], v10, v7, 0
	v_mul_hi_u32 v12, v10, v6
	v_add_co_u32_e32 v12, vcc, v12, v4
	v_addc_co_u32_e32 v13, vcc, 0, v5, vcc
	v_mad_u64_u32 v[4:5], s[0:1], v11, v6, 0
	v_mad_u64_u32 v[6:7], s[0:1], v11, v7, 0
	v_add_co_u32_e32 v4, vcc, v12, v4
	v_addc_co_u32_e32 v4, vcc, v13, v5, vcc
	v_addc_co_u32_e32 v5, vcc, 0, v7, vcc
	v_add_co_u32_e32 v7, vcc, v4, v6
	v_addc_co_u32_e32 v6, vcc, 0, v5, vcc
	v_mul_lo_u32 v12, s25, v7
	v_mul_lo_u32 v13, s24, v6
	v_mad_u64_u32 v[4:5], s[0:1], s24, v7, 0
	v_add3_u32 v5, v5, v13, v12
	v_sub_u32_e32 v12, v11, v5
	v_mov_b32_e32 v13, s25
	v_sub_co_u32_e32 v4, vcc, v10, v4
	v_subb_co_u32_e64 v12, s[0:1], v12, v13, vcc
	v_subrev_co_u32_e64 v13, s[0:1], s24, v4
	v_subbrev_co_u32_e64 v12, s[0:1], 0, v12, s[0:1]
	v_cmp_le_u32_e64 s[0:1], s25, v12
	v_cndmask_b32_e64 v14, 0, -1, s[0:1]
	v_cmp_le_u32_e64 s[0:1], s24, v13
	v_cndmask_b32_e64 v13, 0, -1, s[0:1]
	v_cmp_eq_u32_e64 s[0:1], s25, v12
	v_cndmask_b32_e64 v12, v14, v13, s[0:1]
	v_add_co_u32_e64 v13, s[0:1], 2, v7
	v_addc_co_u32_e64 v14, s[0:1], 0, v6, s[0:1]
	v_add_co_u32_e64 v15, s[0:1], 1, v7
	v_addc_co_u32_e64 v16, s[0:1], 0, v6, s[0:1]
	v_subb_co_u32_e32 v5, vcc, v11, v5, vcc
	v_cmp_ne_u32_e64 s[0:1], 0, v12
	v_cmp_le_u32_e32 vcc, s25, v5
	v_cndmask_b32_e64 v12, v16, v14, s[0:1]
	v_cndmask_b32_e64 v14, 0, -1, vcc
	v_cmp_le_u32_e32 vcc, s24, v4
	v_cndmask_b32_e64 v4, 0, -1, vcc
	v_cmp_eq_u32_e32 vcc, s25, v5
	v_cndmask_b32_e32 v4, v14, v4, vcc
	v_cmp_ne_u32_e32 vcc, 0, v4
	v_cndmask_b32_e64 v4, v15, v13, s[0:1]
	v_cndmask_b32_e32 v6, v6, v12, vcc
	v_cndmask_b32_e32 v5, v7, v4, vcc
.LBB0_4:                                ;   in Loop: Header=BB0_2 Depth=1
	s_andn2_saveexec_b64 s[0:1], s[26:27]
	s_cbranch_execz .LBB0_6
; %bb.5:                                ;   in Loop: Header=BB0_2 Depth=1
	v_cvt_f32_u32_e32 v4, s24
	s_sub_i32 s26, 0, s24
	v_rcp_iflag_f32_e32 v4, v4
	v_mul_f32_e32 v4, 0x4f7ffffe, v4
	v_cvt_u32_f32_e32 v4, v4
	v_mul_lo_u32 v5, s26, v4
	v_mul_hi_u32 v5, v4, v5
	v_add_u32_e32 v4, v4, v5
	v_mul_hi_u32 v4, v10, v4
	v_mul_lo_u32 v5, v4, s24
	v_add_u32_e32 v6, 1, v4
	v_sub_u32_e32 v5, v10, v5
	v_subrev_u32_e32 v7, s24, v5
	v_cmp_le_u32_e32 vcc, s24, v5
	v_cndmask_b32_e32 v5, v5, v7, vcc
	v_cndmask_b32_e32 v4, v4, v6, vcc
	v_add_u32_e32 v6, 1, v4
	v_cmp_le_u32_e32 vcc, s24, v5
	v_cndmask_b32_e32 v5, v4, v6, vcc
	v_mov_b32_e32 v6, v3
.LBB0_6:                                ;   in Loop: Header=BB0_2 Depth=1
	s_or_b64 exec, exec, s[0:1]
	v_mul_lo_u32 v4, v6, s24
	v_mul_lo_u32 v7, v5, s25
	v_mad_u64_u32 v[12:13], s[0:1], v5, s24, 0
	s_load_dwordx2 s[0:1], s[6:7], 0x0
	s_load_dwordx2 s[24:25], s[2:3], 0x0
	v_add3_u32 v4, v13, v7, v4
	v_sub_co_u32_e32 v7, vcc, v10, v12
	v_subb_co_u32_e32 v4, vcc, v11, v4, vcc
	s_waitcnt lgkmcnt(0)
	v_mul_lo_u32 v10, s0, v4
	v_mul_lo_u32 v11, s1, v7
	v_mad_u64_u32 v[8:9], s[0:1], s0, v7, v[8:9]
	s_add_u32 s22, s22, 1
	s_addc_u32 s23, s23, 0
	s_add_u32 s2, s2, 8
	v_mul_lo_u32 v4, s24, v4
	v_mul_lo_u32 v12, s25, v7
	v_mad_u64_u32 v[1:2], s[0:1], s24, v7, v[1:2]
	v_add3_u32 v9, v11, v9, v10
	s_addc_u32 s3, s3, 0
	v_mov_b32_e32 v10, s14
	s_add_u32 s6, s6, 8
	v_mov_b32_e32 v11, s15
	s_addc_u32 s7, s7, 0
	v_cmp_ge_u64_e32 vcc, s[22:23], v[10:11]
	s_add_u32 s20, s20, 8
	v_add3_u32 v2, v12, v2, v4
	s_addc_u32 s21, s21, 0
	s_cbranch_vccnz .LBB0_8
; %bb.7:                                ;   in Loop: Header=BB0_2 Depth=1
	v_mov_b32_e32 v11, v6
	v_mov_b32_e32 v10, v5
	s_branch .LBB0_2
.LBB0_8:
	s_load_dwordx2 s[0:1], s[4:5], 0x28
	s_lshl_b64 s[6:7], s[14:15], 3
	s_add_u32 s2, s18, s6
	s_addc_u32 s3, s19, s7
                                        ; implicit-def: $sgpr14_sgpr15
                                        ; implicit-def: $vgpr7
	s_waitcnt lgkmcnt(0)
	v_cmp_gt_u64_e32 vcc, s[0:1], v[5:6]
	v_cmp_le_u64_e64 s[0:1], s[0:1], v[5:6]
	s_and_saveexec_b64 s[4:5], s[0:1]
	s_xor_b64 s[0:1], exec, s[4:5]
; %bb.9:
	s_mov_b32 s4, 0xf0f0f10
	v_mul_hi_u32 v3, v0, s4
	s_mov_b64 s[14:15], 0
                                        ; implicit-def: $vgpr8_vgpr9
	v_mul_u32_u24_e32 v3, 17, v3
	v_sub_u32_e32 v7, v0, v3
                                        ; implicit-def: $vgpr0
; %bb.10:
	s_or_saveexec_b64 s[4:5], s[0:1]
	v_mov_b32_e32 v3, s14
	v_mov_b32_e32 v13, s14
	;; [unrolled: 1-line block ×4, first 2 shown]
                                        ; implicit-def: $vgpr41
                                        ; implicit-def: $vgpr37
                                        ; implicit-def: $vgpr33
                                        ; implicit-def: $vgpr29
                                        ; implicit-def: $vgpr24
                                        ; implicit-def: $vgpr20
                                        ; implicit-def: $vgpr16
                                        ; implicit-def: $vgpr10
                                        ; implicit-def: $vgpr43
                                        ; implicit-def: $vgpr39
                                        ; implicit-def: $vgpr35
                                        ; implicit-def: $vgpr31
                                        ; implicit-def: $vgpr26
                                        ; implicit-def: $vgpr22
                                        ; implicit-def: $vgpr18
                                        ; implicit-def: $vgpr12
	s_xor_b64 exec, exec, s[4:5]
	s_cbranch_execz .LBB0_12
; %bb.11:
	s_add_u32 s0, s16, s6
	s_addc_u32 s1, s17, s7
	s_load_dwordx2 s[0:1], s[0:1], 0x0
	s_mov_b32 s6, 0xf0f0f10
	v_mul_hi_u32 v7, v0, s6
	s_waitcnt lgkmcnt(0)
	v_mul_lo_u32 v10, s1, v5
	v_mul_lo_u32 v11, s0, v6
	v_mad_u64_u32 v[3:4], s[0:1], s0, v5, 0
	v_mul_u32_u24_e32 v7, 17, v7
	v_sub_u32_e32 v7, v0, v7
	v_add3_u32 v4, v4, v11, v10
	v_lshlrev_b64 v[3:4], 3, v[3:4]
	v_mov_b32_e32 v0, s9
	v_add_co_u32_e64 v10, s[0:1], s8, v3
	v_addc_co_u32_e64 v0, s[0:1], v0, v4, s[0:1]
	v_lshlrev_b64 v[3:4], 3, v[8:9]
	v_mov_b32_e32 v8, 0
	v_add_co_u32_e64 v3, s[0:1], v10, v3
	v_addc_co_u32_e64 v0, s[0:1], v0, v4, s[0:1]
	v_lshlrev_b32_e32 v4, 3, v7
	v_add_co_u32_e64 v3, s[0:1], v3, v4
	v_addc_co_u32_e64 v4, s[0:1], 0, v0, s[0:1]
	global_load_dwordx2 v[13:14], v[3:4], off
	global_load_dwordx2 v[40:41], v[3:4], off offset:136
	global_load_dwordx2 v[36:37], v[3:4], off offset:272
	;; [unrolled: 1-line block ×16, first 2 shown]
	v_mov_b32_e32 v3, v7
	v_mov_b32_e32 v4, v8
.LBB0_12:
	s_or_b64 exec, exec, s[4:5]
	s_mov_b32 s0, 0x24924925
	v_mul_hi_u32 v0, v27, s0
	s_waitcnt vmcnt(15)
	v_add_f32_e32 v8, v40, v13
	v_add_f32_e32 v44, v41, v14
	s_waitcnt vmcnt(14)
	v_add_f32_e32 v8, v36, v8
	v_sub_u32_e32 v45, v27, v0
	v_lshrrev_b32_e32 v45, 1, v45
	v_add_u32_e32 v0, v45, v0
	v_lshrrev_b32_e32 v0, 2, v0
	v_mul_lo_u32 v0, v0, 7
	v_add_f32_e32 v44, v37, v44
	s_waitcnt vmcnt(13)
	v_add_f32_e32 v8, v32, v8
	v_add_f32_e32 v44, v33, v44
	v_sub_u32_e32 v27, v27, v0
	s_waitcnt vmcnt(12)
	v_add_f32_e32 v0, v28, v8
	v_add_f32_e32 v8, v29, v44
	s_waitcnt vmcnt(11)
	v_add_f32_e32 v0, v23, v0
	v_add_f32_e32 v8, v24, v8
	;; [unrolled: 3-line block ×13, first 2 shown]
	v_add_f32_e32 v0, v43, v44
	v_add_f32_e32 v44, v41, v43
	v_sub_f32_e32 v45, v40, v42
	v_sub_f32_e32 v47, v41, v43
	v_mul_f32_e32 v42, 0x3f6eb680, v46
	v_add_f32_e32 v41, v36, v38
	v_add_f32_e32 v40, v37, v39
	v_sub_f32_e32 v38, v36, v38
	v_sub_f32_e32 v36, v37, v39
	v_add_f32_e32 v39, v32, v34
	v_add_f32_e32 v37, v33, v35
	v_sub_f32_e32 v34, v32, v34
	v_sub_f32_e32 v32, v33, v35
	;; [unrolled: 4-line block ×6, first 2 shown]
	v_mul_f32_e32 v16, 0x3f3d2fb0, v46
	v_mul_f32_e32 v48, 0x3ee437d1, v46
	;; [unrolled: 1-line block ×7, first 2 shown]
	v_mov_b32_e32 v43, v42
	v_mov_b32_e32 v18, v16
	;; [unrolled: 1-line block ×8, first 2 shown]
	v_fmac_f32_e32 v43, 0x3eb8f4ab, v47
	v_fmac_f32_e32 v42, 0xbeb8f4ab, v47
	;; [unrolled: 1-line block ×16, first 2 shown]
	v_mul_f32_e32 v47, 0xbeb8f4ab, v45
	v_mul_f32_e32 v60, 0xbf2c7751, v45
	v_mul_f32_e32 v62, 0xbf65296c, v45
	v_mul_f32_e32 v64, 0xbf7ee86f, v45
	v_mul_f32_e32 v66, 0xbf763a35, v45
	v_mul_f32_e32 v68, 0xbf4c4adb, v45
	v_mul_f32_e32 v70, 0xbf06c442, v45
	v_mul_f32_e32 v45, 0xbe3c28d5, v45
	s_mov_b32 s4, 0x3f6eb680
	v_mov_b32_e32 v59, v47
	s_mov_b32 s5, 0x3f3d2fb0
	v_mov_b32_e32 v61, v60
	;; [unrolled: 2-line block ×8, first 2 shown]
	v_fmac_f32_e32 v59, 0x3f6eb680, v44
	v_fma_f32 v47, v44, s4, -v47
	v_fmac_f32_e32 v61, 0x3f3d2fb0, v44
	v_fma_f32 v60, v44, s5, -v60
	;; [unrolled: 2-line block ×8, first 2 shown]
	v_add_f32_e32 v45, v59, v14
	v_add_f32_e32 v47, v47, v14
	;; [unrolled: 1-line block ×16, first 2 shown]
	v_mul_f32_e32 v44, 0x3f3d2fb0, v41
	v_add_f32_e32 v43, v43, v13
	v_add_f32_e32 v42, v42, v13
	;; [unrolled: 1-line block ×16, first 2 shown]
	v_mov_b32_e32 v46, v44
	v_fmac_f32_e32 v46, 0x3f2c7751, v36
	v_add_f32_e32 v43, v46, v43
	v_mul_f32_e32 v46, 0xbf2c7751, v38
	v_fmac_f32_e32 v44, 0xbf2c7751, v36
	v_mov_b32_e32 v72, v46
	v_add_f32_e32 v42, v44, v42
	v_fma_f32 v44, v40, s5, -v46
	v_mul_f32_e32 v46, 0x3dbcf732, v41
	v_add_f32_e32 v44, v44, v47
	v_mov_b32_e32 v47, v46
	v_fmac_f32_e32 v47, 0x3f7ee86f, v36
	v_fmac_f32_e32 v72, 0x3f3d2fb0, v40
	v_add_f32_e32 v18, v47, v18
	v_mul_f32_e32 v47, 0xbf7ee86f, v38
	v_fmac_f32_e32 v46, 0xbf7ee86f, v36
	v_add_f32_e32 v45, v72, v45
	v_mov_b32_e32 v72, v47
	v_add_f32_e32 v16, v46, v16
	v_fma_f32 v46, v40, s7, -v47
	v_mul_f32_e32 v47, 0xbf1a4643, v41
	v_add_f32_e32 v46, v46, v60
	v_mov_b32_e32 v60, v47
	v_fmac_f32_e32 v60, 0x3f4c4adb, v36
	v_fmac_f32_e32 v72, 0x3dbcf732, v40
	v_add_f32_e32 v49, v60, v49
	v_mul_f32_e32 v60, 0xbf4c4adb, v38
	v_fmac_f32_e32 v47, 0xbf4c4adb, v36
	v_add_f32_e32 v59, v72, v59
	v_mov_b32_e32 v72, v60
	v_add_f32_e32 v47, v47, v48
	v_fma_f32 v48, v40, s9, -v60
	v_mul_f32_e32 v60, 0xbf7ba420, v41
	v_add_f32_e32 v48, v48, v62
	v_mov_b32_e32 v62, v60
	v_fmac_f32_e32 v62, 0x3e3c28d5, v36
	v_fmac_f32_e32 v72, 0xbf1a4643, v40
	v_add_f32_e32 v51, v62, v51
	v_mul_f32_e32 v62, 0xbe3c28d5, v38
	v_fmac_f32_e32 v60, 0xbe3c28d5, v36
	v_add_f32_e32 v61, v72, v61
	v_mov_b32_e32 v72, v62
	v_add_f32_e32 v50, v60, v50
	v_fma_f32 v60, v40, s15, -v62
	v_mul_f32_e32 v62, 0xbf59a7d5, v41
	v_add_f32_e32 v60, v60, v64
	v_mov_b32_e32 v64, v62
	v_fmac_f32_e32 v64, 0xbf06c442, v36
	v_fmac_f32_e32 v72, 0xbf7ba420, v40
	v_add_f32_e32 v53, v64, v53
	v_mul_f32_e32 v64, 0x3f06c442, v38
	v_fmac_f32_e32 v62, 0x3f06c442, v36
	v_add_f32_e32 v63, v72, v63
	v_mov_b32_e32 v72, v64
	v_add_f32_e32 v52, v62, v52
	v_fma_f32 v62, v40, s14, -v64
	v_mul_f32_e32 v64, 0xbe8c1d8e, v41
	v_add_f32_e32 v62, v62, v66
	v_mov_b32_e32 v66, v64
	v_fmac_f32_e32 v66, 0xbf763a35, v36
	v_fmac_f32_e32 v72, 0xbf59a7d5, v40
	v_add_f32_e32 v55, v66, v55
	v_mul_f32_e32 v66, 0x3f763a35, v38
	v_fmac_f32_e32 v64, 0x3f763a35, v36
	v_add_f32_e32 v65, v72, v65
	v_mov_b32_e32 v72, v66
	v_add_f32_e32 v54, v64, v54
	v_fma_f32 v64, v40, s8, -v66
	v_mul_f32_e32 v66, 0x3ee437d1, v41
	v_add_f32_e32 v64, v64, v68
	v_mov_b32_e32 v68, v66
	v_fmac_f32_e32 v68, 0xbf65296c, v36
	v_fmac_f32_e32 v72, 0xbe8c1d8e, v40
	v_add_f32_e32 v57, v68, v57
	v_mul_f32_e32 v68, 0x3f65296c, v38
	v_fmac_f32_e32 v66, 0x3f65296c, v36
	v_mul_f32_e32 v41, 0x3f6eb680, v41
	v_add_f32_e32 v67, v72, v67
	v_mov_b32_e32 v72, v68
	v_add_f32_e32 v56, v66, v56
	v_fma_f32 v66, v40, s6, -v68
	v_mov_b32_e32 v68, v41
	v_mul_f32_e32 v38, 0x3eb8f4ab, v38
	v_fmac_f32_e32 v68, 0xbeb8f4ab, v36
	v_fmac_f32_e32 v41, 0x3eb8f4ab, v36
	v_fma_f32 v36, v40, s4, -v38
	v_add_f32_e32 v14, v36, v14
	v_mul_f32_e32 v36, 0x3ee437d1, v39
	v_add_f32_e32 v58, v68, v58
	v_mov_b32_e32 v68, v38
	v_mov_b32_e32 v38, v36
	v_fmac_f32_e32 v36, 0xbf65296c, v32
	v_fmac_f32_e32 v38, 0x3f65296c, v32
	v_add_f32_e32 v36, v36, v42
	v_mul_f32_e32 v42, 0xbf1a4643, v39
	v_add_f32_e32 v38, v38, v43
	v_mov_b32_e32 v43, v42
	v_fmac_f32_e32 v72, 0x3ee437d1, v40
	v_fmac_f32_e32 v68, 0x3f6eb680, v40
	v_mul_f32_e32 v40, 0xbf65296c, v34
	v_fmac_f32_e32 v43, 0x3f4c4adb, v32
	v_add_f32_e32 v13, v41, v13
	v_mov_b32_e32 v41, v40
	v_fma_f32 v40, v37, s6, -v40
	v_add_f32_e32 v18, v43, v18
	v_mul_f32_e32 v43, 0xbf4c4adb, v34
	v_fmac_f32_e32 v42, 0xbf4c4adb, v32
	v_fmac_f32_e32 v41, 0x3ee437d1, v37
	v_add_f32_e32 v40, v40, v44
	v_mov_b32_e32 v44, v43
	v_add_f32_e32 v16, v42, v16
	v_fma_f32 v42, v37, s9, -v43
	v_mul_f32_e32 v43, 0xbf7ba420, v39
	v_add_f32_e32 v41, v41, v45
	v_mov_b32_e32 v45, v43
	v_add_f32_e32 v42, v42, v46
	v_fmac_f32_e32 v45, 0xbe3c28d5, v32
	v_mul_f32_e32 v46, 0x3e3c28d5, v34
	v_fmac_f32_e32 v43, 0x3e3c28d5, v32
	v_add_f32_e32 v45, v45, v49
	v_mov_b32_e32 v49, v46
	v_add_f32_e32 v43, v43, v47
	v_fma_f32 v46, v37, s15, -v46
	v_mul_f32_e32 v47, 0xbe8c1d8e, v39
	v_add_f32_e32 v46, v46, v48
	v_mov_b32_e32 v48, v47
	v_fmac_f32_e32 v48, 0xbf763a35, v32
	v_fmac_f32_e32 v44, 0xbf1a4643, v37
	v_add_f32_e32 v48, v48, v51
	v_mul_f32_e32 v51, 0x3f763a35, v34
	v_fmac_f32_e32 v47, 0x3f763a35, v32
	v_add_f32_e32 v44, v44, v59
	v_mov_b32_e32 v59, v51
	v_add_f32_e32 v47, v47, v50
	v_fma_f32 v50, v37, s8, -v51
	v_mul_f32_e32 v51, 0x3f3d2fb0, v39
	v_add_f32_e32 v50, v50, v60
	v_mov_b32_e32 v60, v51
	v_fmac_f32_e32 v60, 0xbf2c7751, v32
	v_fmac_f32_e32 v49, 0xbf7ba420, v37
	v_add_f32_e32 v53, v60, v53
	;; [unrolled: 12-line block ×4, first 2 shown]
	v_mul_f32_e32 v64, 0xbf7ee86f, v34
	v_fmac_f32_e32 v62, 0xbf7ee86f, v32
	v_mul_f32_e32 v39, 0xbf59a7d5, v39
	v_add_f32_e32 v61, v61, v65
	v_mov_b32_e32 v65, v64
	v_add_f32_e32 v56, v62, v56
	v_fma_f32 v62, v37, s7, -v64
	v_mov_b32_e32 v64, v39
	v_mul_f32_e32 v34, 0xbf06c442, v34
	v_fmac_f32_e32 v64, 0x3f06c442, v32
	v_fmac_f32_e32 v39, 0xbf06c442, v32
	v_fma_f32 v32, v37, s14, -v34
	v_add_f32_e32 v14, v32, v14
	v_mul_f32_e32 v32, 0x3dbcf732, v35
	v_add_f32_e32 v58, v64, v58
	v_mov_b32_e32 v64, v34
	v_mov_b32_e32 v34, v32
	v_fmac_f32_e32 v63, 0x3f6eb680, v37
	v_fmac_f32_e32 v65, 0x3dbcf732, v37
	v_fmac_f32_e32 v64, 0xbf59a7d5, v37
	v_fmac_f32_e32 v34, 0x3f7ee86f, v28
	v_mul_f32_e32 v37, 0xbf7ee86f, v30
	v_fmac_f32_e32 v32, 0xbf7ee86f, v28
	v_add_f32_e32 v34, v34, v38
	v_mov_b32_e32 v38, v37
	v_add_f32_e32 v32, v32, v36
	v_fma_f32 v36, v33, s7, -v37
	v_mul_f32_e32 v37, 0xbf7ba420, v35
	v_add_f32_e32 v13, v39, v13
	v_mov_b32_e32 v39, v37
	v_fmac_f32_e32 v39, 0x3e3c28d5, v28
	v_add_f32_e32 v18, v39, v18
	v_mul_f32_e32 v39, 0xbe3c28d5, v30
	v_fmac_f32_e32 v37, 0xbe3c28d5, v28
	v_fmac_f32_e32 v38, 0x3dbcf732, v33
	v_add_f32_e32 v36, v36, v40
	v_mov_b32_e32 v40, v39
	v_add_f32_e32 v16, v37, v16
	v_fma_f32 v37, v33, s15, -v39
	v_mul_f32_e32 v39, 0xbe8c1d8e, v35
	v_add_f32_e32 v38, v38, v41
	v_mov_b32_e32 v41, v39
	v_fmac_f32_e32 v39, 0x3f763a35, v28
	v_fmac_f32_e32 v40, 0xbf7ba420, v33
	v_add_f32_e32 v37, v37, v42
	v_fmac_f32_e32 v41, 0xbf763a35, v28
	v_mul_f32_e32 v42, 0x3f763a35, v30
	v_add_f32_e32 v39, v39, v43
	v_mul_f32_e32 v43, 0x3f6eb680, v35
	v_add_f32_e32 v40, v40, v44
	v_add_f32_e32 v41, v41, v45
	v_mov_b32_e32 v44, v42
	v_fma_f32 v42, v33, s8, -v42
	v_mov_b32_e32 v45, v43
	v_fmac_f32_e32 v43, 0x3eb8f4ab, v28
	v_fmac_f32_e32 v44, 0xbe8c1d8e, v33
	v_add_f32_e32 v42, v42, v46
	v_fmac_f32_e32 v45, 0xbeb8f4ab, v28
	v_mul_f32_e32 v46, 0x3eb8f4ab, v30
	v_add_f32_e32 v43, v43, v47
	v_mul_f32_e32 v47, 0x3ee437d1, v35
	v_add_f32_e32 v44, v44, v49
	v_add_f32_e32 v45, v45, v48
	v_mov_b32_e32 v48, v46
	v_fma_f32 v46, v33, s4, -v46
	v_mov_b32_e32 v49, v47
	v_add_f32_e32 v46, v46, v50
	v_fmac_f32_e32 v49, 0x3f65296c, v28
	v_mul_f32_e32 v50, 0xbf65296c, v30
	v_fmac_f32_e32 v47, 0xbf65296c, v28
	v_add_f32_e32 v49, v49, v53
	v_mov_b32_e32 v53, v50
	v_add_f32_e32 v47, v47, v51
	v_fma_f32 v50, v33, s6, -v50
	v_mul_f32_e32 v51, 0xbf59a7d5, v35
	v_add_f32_e32 v50, v50, v52
	v_mov_b32_e32 v52, v51
	v_fmac_f32_e32 v52, 0x3f06c442, v28
	v_fmac_f32_e32 v48, 0x3f6eb680, v33
	v_add_f32_e32 v52, v52, v55
	v_mul_f32_e32 v55, 0xbf06c442, v30
	v_fmac_f32_e32 v51, 0xbf06c442, v28
	v_add_f32_e32 v48, v48, v59
	v_mov_b32_e32 v59, v55
	v_add_f32_e32 v51, v51, v54
	v_fma_f32 v54, v33, s14, -v55
	v_mul_f32_e32 v55, 0xbf1a4643, v35
	v_add_f32_e32 v54, v54, v60
	v_mov_b32_e32 v60, v55
	v_fmac_f32_e32 v60, 0xbf4c4adb, v28
	v_fmac_f32_e32 v53, 0x3ee437d1, v33
	v_add_f32_e32 v57, v60, v57
	v_mul_f32_e32 v60, 0x3f4c4adb, v30
	v_fmac_f32_e32 v55, 0x3f4c4adb, v28
	v_mul_f32_e32 v35, 0x3f3d2fb0, v35
	v_add_f32_e32 v53, v53, v61
	v_mov_b32_e32 v61, v60
	v_add_f32_e32 v55, v55, v56
	v_fma_f32 v56, v33, s9, -v60
	v_mov_b32_e32 v60, v35
	v_mul_f32_e32 v30, 0x3f2c7751, v30
	v_fmac_f32_e32 v60, 0xbf2c7751, v28
	v_fmac_f32_e32 v35, 0x3f2c7751, v28
	v_fma_f32 v28, v33, s5, -v30
	v_add_f32_e32 v14, v28, v14
	v_mul_f32_e32 v28, 0xbe8c1d8e, v31
	v_add_f32_e32 v58, v60, v58
	v_mov_b32_e32 v60, v30
	v_mov_b32_e32 v30, v28
	v_fmac_f32_e32 v59, 0xbf59a7d5, v33
	v_fmac_f32_e32 v61, 0xbf1a4643, v33
	;; [unrolled: 1-line block ×4, first 2 shown]
	v_mul_f32_e32 v33, 0xbf763a35, v25
	v_fmac_f32_e32 v28, 0xbf763a35, v23
	v_add_f32_e32 v30, v30, v34
	v_mov_b32_e32 v34, v33
	v_add_f32_e32 v28, v28, v32
	v_fma_f32 v32, v29, s8, -v33
	v_mul_f32_e32 v33, 0xbf59a7d5, v31
	v_add_f32_e32 v13, v35, v13
	v_mov_b32_e32 v35, v33
	v_fmac_f32_e32 v35, 0xbf06c442, v23
	v_add_f32_e32 v18, v35, v18
	v_mul_f32_e32 v35, 0x3f06c442, v25
	v_fmac_f32_e32 v33, 0x3f06c442, v23
	v_add_f32_e32 v32, v32, v36
	v_mov_b32_e32 v36, v35
	v_add_f32_e32 v16, v33, v16
	v_fma_f32 v33, v29, s14, -v35
	v_mul_f32_e32 v35, 0x3f3d2fb0, v31
	v_fmac_f32_e32 v34, 0xbe8c1d8e, v29
	v_add_f32_e32 v33, v33, v37
	v_mov_b32_e32 v37, v35
	v_fmac_f32_e32 v35, 0x3f2c7751, v23
	v_add_f32_e32 v34, v34, v38
	v_fmac_f32_e32 v36, 0xbf59a7d5, v29
	v_fmac_f32_e32 v37, 0xbf2c7751, v23
	v_mul_f32_e32 v38, 0x3f2c7751, v25
	v_add_f32_e32 v35, v35, v39
	v_mul_f32_e32 v39, 0x3ee437d1, v31
	v_add_f32_e32 v36, v36, v40
	v_add_f32_e32 v37, v37, v41
	v_mov_b32_e32 v40, v38
	v_fma_f32 v38, v29, s5, -v38
	v_mov_b32_e32 v41, v39
	v_fmac_f32_e32 v39, 0xbf65296c, v23
	v_fmac_f32_e32 v40, 0x3f3d2fb0, v29
	v_add_f32_e32 v38, v38, v42
	v_fmac_f32_e32 v41, 0x3f65296c, v23
	v_mul_f32_e32 v42, 0xbf65296c, v25
	v_add_f32_e32 v39, v39, v43
	v_mul_f32_e32 v43, 0xbf7ba420, v31
	v_add_f32_e32 v40, v40, v44
	v_add_f32_e32 v41, v41, v45
	v_mov_b32_e32 v44, v42
	v_fma_f32 v42, v29, s6, -v42
	v_mov_b32_e32 v45, v43
	v_fmac_f32_e32 v43, 0xbe3c28d5, v23
	v_fmac_f32_e32 v44, 0x3ee437d1, v29
	v_add_f32_e32 v42, v42, v46
	;; [unrolled: 12-line block ×3, first 2 shown]
	v_fmac_f32_e32 v49, 0xbf7ee86f, v23
	v_mul_f32_e32 v50, 0x3f7ee86f, v25
	v_add_f32_e32 v47, v47, v51
	v_mul_f32_e32 v51, 0x3f6eb680, v31
	v_add_f32_e32 v48, v48, v53
	v_add_f32_e32 v49, v49, v52
	v_mov_b32_e32 v52, v50
	v_fma_f32 v50, v29, s7, -v50
	v_mov_b32_e32 v53, v51
	v_fmac_f32_e32 v51, 0xbeb8f4ab, v23
	v_mul_f32_e32 v31, 0xbf1a4643, v31
	v_add_f32_e32 v66, v66, v70
	v_add_f32_e32 v50, v50, v54
	v_mul_f32_e32 v54, 0xbeb8f4ab, v25
	v_add_f32_e32 v51, v51, v55
	v_mov_b32_e32 v55, v31
	v_mul_f32_e32 v25, 0xbf4c4adb, v25
	v_add_f32_e32 v62, v62, v66
	v_fmac_f32_e32 v53, 0x3eb8f4ab, v23
	v_fmac_f32_e32 v55, 0x3f4c4adb, v23
	;; [unrolled: 1-line block ×3, first 2 shown]
	v_fma_f32 v23, v29, s9, -v25
	v_add_f32_e32 v56, v56, v62
	v_add_f32_e32 v53, v53, v57
	v_mov_b32_e32 v57, v54
	v_fma_f32 v54, v29, s4, -v54
	v_add_f32_e32 v14, v23, v14
	v_mul_f32_e32 v23, 0xbf1a4643, v26
	v_add_f32_e32 v54, v54, v56
	v_mov_b32_e32 v56, v25
	v_mov_b32_e32 v25, v23
	v_fmac_f32_e32 v52, 0x3dbcf732, v29
	v_fmac_f32_e32 v57, 0x3f6eb680, v29
	;; [unrolled: 1-line block ×4, first 2 shown]
	v_mul_f32_e32 v29, 0xbf4c4adb, v21
	v_fmac_f32_e32 v23, 0xbf4c4adb, v20
	v_add_f32_e32 v25, v25, v30
	v_mov_b32_e32 v30, v29
	v_add_f32_e32 v23, v23, v28
	v_fma_f32 v28, v24, s9, -v29
	v_mul_f32_e32 v29, 0xbe8c1d8e, v26
	v_add_f32_e32 v13, v31, v13
	v_mov_b32_e32 v31, v29
	v_fmac_f32_e32 v31, 0xbf763a35, v20
	v_add_f32_e32 v18, v31, v18
	v_mul_f32_e32 v31, 0x3f763a35, v21
	v_fmac_f32_e32 v29, 0x3f763a35, v20
	v_add_f32_e32 v28, v28, v32
	v_mov_b32_e32 v32, v31
	v_add_f32_e32 v16, v29, v16
	v_fma_f32 v29, v24, s8, -v31
	v_mul_f32_e32 v31, 0x3f6eb680, v26
	v_fmac_f32_e32 v30, 0xbf1a4643, v24
	v_add_f32_e32 v29, v29, v33
	v_mov_b32_e32 v33, v31
	v_fmac_f32_e32 v31, 0xbeb8f4ab, v20
	v_add_f32_e32 v30, v30, v34
	v_fmac_f32_e32 v32, 0xbe8c1d8e, v24
	v_fmac_f32_e32 v33, 0x3eb8f4ab, v20
	v_mul_f32_e32 v34, 0xbeb8f4ab, v21
	v_add_f32_e32 v31, v31, v35
	v_mul_f32_e32 v35, 0xbf59a7d5, v26
	v_add_f32_e32 v32, v32, v36
	v_add_f32_e32 v33, v33, v37
	v_mov_b32_e32 v36, v34
	v_fma_f32 v34, v24, s4, -v34
	v_mov_b32_e32 v37, v35
	v_fmac_f32_e32 v35, 0xbf06c442, v20
	v_fmac_f32_e32 v36, 0x3f6eb680, v24
	v_add_f32_e32 v34, v34, v38
	v_fmac_f32_e32 v37, 0x3f06c442, v20
	v_mul_f32_e32 v38, 0xbf06c442, v21
	v_add_f32_e32 v35, v35, v39
	v_mul_f32_e32 v39, 0x3dbcf732, v26
	v_add_f32_e32 v36, v36, v40
	v_add_f32_e32 v37, v37, v41
	v_mov_b32_e32 v40, v38
	v_fma_f32 v38, v24, s14, -v38
	v_mov_b32_e32 v41, v39
	v_fmac_f32_e32 v39, 0x3f7ee86f, v20
	v_fmac_f32_e32 v40, 0xbf59a7d5, v24
	v_add_f32_e32 v38, v38, v42
	;; [unrolled: 12-line block ×3, first 2 shown]
	v_fmac_f32_e32 v45, 0x3f2c7751, v20
	v_mul_f32_e32 v46, 0xbf2c7751, v21
	v_add_f32_e32 v43, v43, v47
	v_mul_f32_e32 v47, 0xbf7ba420, v26
	v_add_f32_e32 v44, v44, v48
	v_add_f32_e32 v45, v45, v49
	v_mov_b32_e32 v48, v46
	v_fma_f32 v46, v24, s5, -v46
	v_mov_b32_e32 v49, v47
	v_fmac_f32_e32 v47, 0xbe3c28d5, v20
	v_mul_f32_e32 v26, 0x3ee437d1, v26
	v_add_f32_e32 v63, v63, v67
	v_add_f32_e32 v46, v46, v50
	v_mul_f32_e32 v50, 0xbe3c28d5, v21
	v_add_f32_e32 v47, v47, v51
	v_mov_b32_e32 v51, v26
	v_mul_f32_e32 v21, 0x3f65296c, v21
	v_add_f32_e32 v59, v59, v63
	v_fmac_f32_e32 v49, 0x3e3c28d5, v20
	v_fmac_f32_e32 v51, 0xbf65296c, v20
	;; [unrolled: 1-line block ×3, first 2 shown]
	v_fma_f32 v20, v24, s6, -v21
	v_add_f32_e32 v52, v52, v59
	v_fmac_f32_e32 v48, 0x3f3d2fb0, v24
	v_add_f32_e32 v14, v20, v14
	v_mul_f32_e32 v20, 0xbf59a7d5, v22
	v_add_f32_e32 v48, v48, v52
	v_add_f32_e32 v49, v49, v53
	v_mov_b32_e32 v52, v50
	v_mov_b32_e32 v53, v21
	;; [unrolled: 1-line block ×3, first 2 shown]
	v_fmac_f32_e32 v52, 0xbf7ba420, v24
	v_fma_f32 v50, v24, s15, -v50
	v_fmac_f32_e32 v53, 0x3ee437d1, v24
	v_fmac_f32_e32 v21, 0x3f06c442, v15
	v_mul_f32_e32 v24, 0xbf06c442, v17
	v_fmac_f32_e32 v20, 0xbf06c442, v15
	v_add_f32_e32 v21, v21, v25
	v_mov_b32_e32 v25, v24
	v_add_f32_e32 v20, v20, v23
	v_fma_f32 v23, v19, s14, -v24
	v_mul_f32_e32 v24, 0x3ee437d1, v22
	v_add_f32_e32 v13, v26, v13
	v_mov_b32_e32 v26, v24
	v_fmac_f32_e32 v26, 0xbf65296c, v15
	v_add_f32_e32 v18, v26, v18
	v_mul_f32_e32 v26, 0x3f65296c, v17
	v_fmac_f32_e32 v24, 0x3f65296c, v15
	v_add_f32_e32 v23, v23, v28
	v_mov_b32_e32 v28, v26
	v_add_f32_e32 v16, v24, v16
	v_fma_f32 v24, v19, s6, -v26
	v_mul_f32_e32 v26, 0x3dbcf732, v22
	v_fmac_f32_e32 v25, 0xbf59a7d5, v19
	v_add_f32_e32 v24, v24, v29
	v_mov_b32_e32 v29, v26
	v_fmac_f32_e32 v26, 0xbf7ee86f, v15
	v_add_f32_e32 v25, v25, v30
	v_fmac_f32_e32 v28, 0x3ee437d1, v19
	v_fmac_f32_e32 v29, 0x3f7ee86f, v15
	v_mul_f32_e32 v30, 0xbf7ee86f, v17
	v_add_f32_e32 v26, v26, v31
	v_mul_f32_e32 v31, 0xbf1a4643, v22
	v_add_f32_e32 v28, v28, v32
	v_add_f32_e32 v29, v29, v33
	v_mov_b32_e32 v32, v30
	v_fma_f32 v30, v19, s7, -v30
	v_mov_b32_e32 v33, v31
	v_fmac_f32_e32 v31, 0x3f4c4adb, v15
	v_fmac_f32_e32 v32, 0x3dbcf732, v19
	v_add_f32_e32 v30, v30, v34
	v_fmac_f32_e32 v33, 0xbf4c4adb, v15
	v_mul_f32_e32 v34, 0x3f4c4adb, v17
	v_add_f32_e32 v31, v31, v35
	v_mul_f32_e32 v35, 0x3f6eb680, v22
	v_add_f32_e32 v32, v32, v36
	v_add_f32_e32 v33, v33, v37
	v_mov_b32_e32 v36, v34
	v_fma_f32 v34, v19, s9, -v34
	v_mov_b32_e32 v37, v35
	v_fmac_f32_e32 v35, 0xbeb8f4ab, v15
	v_fmac_f32_e32 v36, 0xbf1a4643, v19
	v_add_f32_e32 v34, v34, v38
	;; [unrolled: 12-line block ×3, first 2 shown]
	v_fmac_f32_e32 v41, 0x3e3c28d5, v15
	v_mul_f32_e32 v42, 0xbe3c28d5, v17
	v_add_f32_e32 v39, v39, v43
	v_mul_f32_e32 v43, 0x3f3d2fb0, v22
	v_add_f32_e32 v40, v40, v44
	v_add_f32_e32 v41, v41, v45
	v_mov_b32_e32 v44, v42
	v_fma_f32 v42, v19, s15, -v42
	v_mov_b32_e32 v45, v43
	v_add_f32_e32 v42, v42, v46
	v_fmac_f32_e32 v45, 0xbf2c7751, v15
	v_mul_f32_e32 v46, 0x3f2c7751, v17
	v_mul_f32_e32 v17, 0xbf763a35, v17
	v_add_f32_e32 v45, v45, v49
	v_mov_b32_e32 v49, v17
	v_fma_f32 v17, v19, s8, -v17
	v_fmac_f32_e32 v44, 0xbf7ba420, v19
	v_add_f32_e32 v14, v17, v14
	v_add_f32_e32 v17, v9, v11
	;; [unrolled: 1-line block ×3, first 2 shown]
	v_mov_b32_e32 v48, v46
	v_sub_f32_e32 v9, v9, v11
	v_mul_f32_e32 v11, 0xbf7ba420, v17
	v_fmac_f32_e32 v48, 0x3f3d2fb0, v19
	v_fma_f32 v46, v19, s5, -v46
	v_fmac_f32_e32 v49, 0xbe8c1d8e, v19
	v_add_f32_e32 v19, v10, v12
	v_sub_f32_e32 v10, v10, v12
	v_mov_b32_e32 v12, v11
	v_fmac_f32_e32 v43, 0x3f2c7751, v15
	v_mul_f32_e32 v22, 0xbe8c1d8e, v22
	v_fmac_f32_e32 v12, 0x3e3c28d5, v10
	v_add_f32_e32 v55, v55, v58
	v_add_f32_e32 v43, v43, v47
	v_mov_b32_e32 v47, v22
	v_add_f32_e32 v12, v12, v21
	v_mul_f32_e32 v21, 0xbe3c28d5, v9
	v_fmac_f32_e32 v11, 0xbe3c28d5, v10
	v_add_f32_e32 v51, v51, v55
	v_fmac_f32_e32 v47, 0x3f763a35, v15
	v_add_f32_e32 v11, v11, v20
	v_fma_f32 v20, v19, s15, -v21
	v_add_f32_e32 v47, v47, v51
	v_fmac_f32_e32 v22, 0xbf763a35, v15
	v_add_f32_e32 v51, v20, v23
	v_mul_f32_e32 v20, 0x3f6eb680, v17
	v_add_f32_e32 v69, v72, v69
	v_add_f32_e32 v13, v22, v13
	v_mov_b32_e32 v22, v21
	v_mov_b32_e32 v21, v20
	v_add_f32_e32 v65, v65, v69
	v_fmac_f32_e32 v21, 0xbeb8f4ab, v10
	v_add_f32_e32 v61, v61, v65
	v_add_f32_e32 v50, v50, v54
	v_fmac_f32_e32 v22, 0xbf7ba420, v19
	v_add_f32_e32 v18, v21, v18
	v_mul_f32_e32 v21, 0x3eb8f4ab, v9
	v_add_f32_e32 v57, v57, v61
	v_add_f32_e32 v46, v46, v50
	;; [unrolled: 1-line block ×3, first 2 shown]
	v_mov_b32_e32 v22, v21
	v_fmac_f32_e32 v20, 0x3eb8f4ab, v10
	v_add_f32_e32 v52, v52, v57
	v_fmac_f32_e32 v22, 0x3f6eb680, v19
	v_add_f32_e32 v16, v20, v16
	v_fma_f32 v20, v19, s4, -v21
	v_add_f32_e32 v48, v48, v52
	v_add_f32_e32 v28, v22, v28
	;; [unrolled: 1-line block ×3, first 2 shown]
	v_mul_f32_e32 v20, 0xbf59a7d5, v17
	v_mul_f32_e32 v22, 0xbf06c442, v9
	v_mov_b32_e32 v21, v20
	v_mov_b32_e32 v23, v22
	v_fma_f32 v22, v19, s14, -v22
	v_fmac_f32_e32 v21, 0x3f06c442, v10
	v_fmac_f32_e32 v23, 0xbf59a7d5, v19
	;; [unrolled: 1-line block ×3, first 2 shown]
	v_add_f32_e32 v30, v22, v30
	v_mul_f32_e32 v22, 0x3f3d2fb0, v17
	v_mul_f32_e32 v24, 0x3f2c7751, v9
	v_add_f32_e32 v21, v21, v29
	v_add_f32_e32 v29, v23, v32
	;; [unrolled: 1-line block ×3, first 2 shown]
	v_mov_b32_e32 v23, v22
	v_mov_b32_e32 v25, v24
	v_fmac_f32_e32 v22, 0x3f2c7751, v10
	v_fma_f32 v24, v19, s5, -v24
	v_mul_f32_e32 v26, 0xbf4c4adb, v9
	v_mul_u32_u24_e32 v15, 0x121, v27
	v_fmac_f32_e32 v25, 0x3f3d2fb0, v19
	v_add_f32_e32 v22, v22, v31
	v_add_f32_e32 v31, v24, v34
	v_mul_f32_e32 v24, 0xbf1a4643, v17
	v_mov_b32_e32 v27, v26
	v_fma_f32 v26, v19, s9, -v26
	v_fmac_f32_e32 v23, 0xbf2c7751, v10
	v_add_f32_e32 v32, v25, v36
	v_mov_b32_e32 v25, v24
	v_fmac_f32_e32 v27, 0xbf1a4643, v19
	v_fmac_f32_e32 v24, 0xbf4c4adb, v10
	v_add_f32_e32 v34, v26, v38
	v_mul_f32_e32 v26, 0x3ee437d1, v17
	v_add_f32_e32 v23, v23, v33
	v_fmac_f32_e32 v25, 0x3f4c4adb, v10
	v_add_f32_e32 v33, v27, v40
	v_add_f32_e32 v24, v24, v35
	v_mov_b32_e32 v27, v26
	v_mul_f32_e32 v35, 0x3f65296c, v9
	v_fmac_f32_e32 v26, 0x3f65296c, v10
	v_add_f32_e32 v25, v25, v37
	v_mov_b32_e32 v36, v35
	v_add_f32_e32 v26, v26, v39
	v_fma_f32 v35, v19, s6, -v35
	v_mul_f32_e32 v37, 0xbe8c1d8e, v17
	v_mul_f32_e32 v39, 0xbf763a35, v9
	;; [unrolled: 1-line block ×3, first 2 shown]
	v_fmac_f32_e32 v27, 0xbf65296c, v10
	v_add_f32_e32 v35, v35, v42
	v_mov_b32_e32 v38, v37
	v_fmac_f32_e32 v37, 0xbf763a35, v10
	v_mul_f32_e32 v17, 0x3dbcf732, v17
	v_mov_b32_e32 v42, v9
	v_fma_f32 v9, v19, s7, -v9
	v_add_f32_e32 v27, v27, v41
	v_add_f32_e32 v37, v37, v43
	v_mov_b32_e32 v41, v17
	v_fmac_f32_e32 v17, 0x3f7ee86f, v10
	v_add_f32_e32 v43, v9, v14
	v_lshlrev_b32_e32 v9, 2, v15
	s_load_dwordx2 s[0:1], s[2:3], 0x0
	v_fmac_f32_e32 v36, 0x3ee437d1, v19
	v_fmac_f32_e32 v38, 0x3f763a35, v10
	;; [unrolled: 1-line block ×3, first 2 shown]
	v_add_f32_e32 v10, v17, v13
	v_add_u32_e32 v13, 0, v9
	s_movk_i32 s2, 0x44
	v_add_f32_e32 v36, v36, v44
	v_mad_u32_u24 v44, v7, s2, v13
	v_add_f32_e32 v38, v38, v45
	v_add_f32_e32 v41, v41, v47
	ds_write2_b32 v44, v8, v12 offset1:1
	ds_write2_b32 v44, v18, v21 offset0:2 offset1:3
	ds_write2_b32 v44, v23, v25 offset0:4 offset1:5
	;; [unrolled: 1-line block ×7, first 2 shown]
	ds_write_b32 v44, v11 offset:64
	v_lshlrev_b32_e32 v8, 2, v7
	v_mov_b32_e32 v40, v39
	v_add_u32_e32 v25, v13, v8
	v_add3_u32 v26, 0, v8, v9
	v_fmac_f32_e32 v40, 0xbe8c1d8e, v19
	v_fma_f32 v39, v19, s8, -v39
	v_fmac_f32_e32 v42, 0x3dbcf732, v19
	s_waitcnt lgkmcnt(0)
	s_barrier
	ds_read_b32 v24, v25
	ds_read2_b32 v[20:21], v26 offset0:17 offset1:34
	ds_read2_b32 v[16:17], v26 offset0:51 offset1:68
	;; [unrolled: 1-line block ×7, first 2 shown]
	v_add_f32_e32 v68, v68, v71
	v_add_u32_e32 v27, 0x200, v26
	v_add_f32_e32 v64, v64, v68
	ds_read2_b32 v[22:23], v27 offset0:127 offset1:144
	v_add_f32_e32 v60, v60, v64
	v_add_f32_e32 v56, v56, v60
	;; [unrolled: 1-line block ×7, first 2 shown]
	s_waitcnt lgkmcnt(0)
	s_barrier
	ds_write2_b32 v44, v0, v50 offset1:1
	ds_write2_b32 v44, v28, v29 offset0:2 offset1:3
	ds_write2_b32 v44, v32, v33 offset0:4 offset1:5
	;; [unrolled: 1-line block ×7, first 2 shown]
	ds_write_b32 v44, v51 offset:64
	s_waitcnt lgkmcnt(0)
	s_barrier
	s_and_saveexec_b64 s[2:3], vcc
	s_cbranch_execz .LBB0_14
; %bb.13:
	v_lshlrev_b32_e32 v28, 4, v7
	v_mov_b32_e32 v29, 0
	v_lshlrev_b64 v[28:29], 3, v[28:29]
	v_mov_b32_e32 v0, s13
	v_add_co_u32_e32 v36, vcc, s12, v28
	v_addc_co_u32_e32 v37, vcc, v0, v29, vcc
	global_load_dwordx4 v[28:31], v[36:37], off
	global_load_dwordx4 v[32:35], v[36:37], off offset:112
	global_load_dwordx4 v[53:56], v[36:37], off offset:16
	;; [unrolled: 1-line block ×5, first 2 shown]
	ds_read2_b32 v[51:52], v26 offset0:17 offset1:34
	ds_read2_b32 v[49:50], v27 offset0:127 offset1:144
	ds_read_b32 v0, v25
	ds_read2_b32 v[61:62], v26 offset0:51 offset1:68
	ds_read2_b32 v[68:69], v26 offset0:221 offset1:238
	ds_read2_b32 v[84:85], v26 offset0:85 offset1:102
	ds_read2_b32 v[70:71], v26 offset0:187 offset1:204
	global_load_dwordx4 v[76:79], v[36:37], off offset:48
	global_load_dwordx4 v[80:83], v[36:37], off offset:64
	v_mul_lo_u32 v7, s1, v5
	v_mul_lo_u32 v38, s0, v6
	v_mad_u64_u32 v[5:6], s[0:1], s0, v5, 0
	v_add3_u32 v6, v6, v38, v7
	v_lshlrev_b64 v[5:6], 3, v[5:6]
	v_add_co_u32_e32 v5, vcc, s10, v5
	s_waitcnt vmcnt(7) lgkmcnt(6)
	v_mul_f32_e32 v7, v51, v29
	s_waitcnt vmcnt(6) lgkmcnt(5)
	v_mul_f32_e32 v25, v50, v35
	v_mul_f32_e32 v37, v22, v33
	;; [unrolled: 1-line block ×6, first 2 shown]
	v_fma_f32 v39, v23, v34, -v25
	v_fmac_f32_e32 v37, v32, v49
	v_fma_f32 v49, v20, v28, -v7
	v_mul_f32_e32 v42, v21, v31
	s_waitcnt vmcnt(5) lgkmcnt(3)
	v_mul_f32_e32 v31, v61, v54
	s_waitcnt vmcnt(4) lgkmcnt(2)
	v_mul_f32_e32 v33, v69, v60
	v_mul_f32_e32 v45, v16, v54
	;; [unrolled: 1-line block ×4, first 2 shown]
	s_waitcnt vmcnt(2) lgkmcnt(0)
	v_mul_f32_e32 v58, v71, v75
	v_mul_f32_e32 v46, v15, v75
	;; [unrolled: 1-line block ×3, first 2 shown]
	v_fma_f32 v40, v22, v32, -v29
	v_fmac_f32_e32 v36, v34, v50
	v_fma_f32 v50, v21, v30, -v27
	v_sub_f32_e32 v75, v49, v39
	v_mul_f32_e32 v38, v19, v60
	v_mul_f32_e32 v35, v62, v56
	v_mul_f32_e32 v48, v17, v56
	v_mul_f32_e32 v56, v84, v65
	v_fmac_f32_e32 v41, v28, v51
	v_fma_f32 v51, v16, v53, -v31
	v_fma_f32 v44, v19, v59, -v33
	v_fmac_f32_e32 v54, v64, v84
	v_sub_f32_e32 v84, v50, v40
	v_mul_f32_e32 v60, 0xbe3c28d5, v75
	v_fmac_f32_e32 v42, v30, v52
	v_fmac_f32_e32 v38, v59, v69
	;; [unrolled: 1-line block ×3, first 2 shown]
	v_fma_f32 v53, v17, v55, -v35
	v_fma_f32 v47, v18, v57, -v47
	v_add_f32_e32 v19, v41, v36
	v_sub_f32_e32 v86, v51, v44
	v_mul_f32_e32 v59, 0x3eb8f4ab, v84
	v_mov_b32_e32 v7, v60
	v_fmac_f32_e32 v48, v55, v62
	v_fma_f32 v55, v12, v64, -v56
	v_fma_f32 v52, v15, v74, -v58
	v_fmac_f32_e32 v46, v74, v71
	v_add_f32_e32 v20, v42, v37
	v_sub_f32_e32 v71, v53, v47
	v_mul_f32_e32 v58, 0xbf06c442, v86
	v_mov_b32_e32 v12, v59
	v_fmac_f32_e32 v7, 0xbf7ba420, v19
	v_fmac_f32_e32 v43, v57, v68
	v_add_f32_e32 v21, v45, v38
	v_sub_f32_e32 v69, v55, v52
	v_mul_f32_e32 v57, 0x3f2c7751, v71
	v_mov_b32_e32 v15, v58
	v_fmac_f32_e32 v12, 0x3f6eb680, v20
	v_add_f32_e32 v7, v0, v7
	v_add_f32_e32 v22, v48, v43
	v_mul_f32_e32 v56, 0xbf4c4adb, v69
	v_mov_b32_e32 v16, v57
	v_fmac_f32_e32 v15, 0xbf59a7d5, v21
	v_add_f32_e32 v7, v7, v12
	v_add_f32_e32 v23, v54, v46
	v_fmac_f32_e32 v16, 0x3f3d2fb0, v22
	v_add_f32_e32 v7, v7, v15
	v_mov_b32_e32 v12, v56
	v_add_f32_e32 v7, v7, v16
	v_fmac_f32_e32 v12, 0xbf1a4643, v23
	v_add_f32_e32 v7, v7, v12
	v_mul_f32_e32 v12, v85, v67
	v_fma_f32 v63, v13, v66, -v12
	v_mul_f32_e32 v12, v70, v73
	v_fma_f32 v62, v14, v72, -v12
	v_mul_f32_e32 v68, v13, v67
	ds_read2_b32 v[12:13], v26 offset0:119 offset1:136
	v_sub_f32_e32 v87, v63, v62
	v_mul_f32_e32 v65, v14, v73
	ds_read2_b32 v[14:15], v26 offset0:153 offset1:170
	v_mul_f32_e32 v61, 0x3f65296c, v87
	v_fmac_f32_e32 v65, v72, v70
	v_fmac_f32_e32 v68, v66, v85
	v_add_f32_e32 v25, v68, v65
	v_mov_b32_e32 v16, v61
	v_fmac_f32_e32 v16, 0x3ee437d1, v25
	v_add_f32_e32 v7, v7, v16
	s_waitcnt vmcnt(1) lgkmcnt(1)
	v_mul_f32_e32 v16, v12, v77
	v_fma_f32 v67, v8, v76, -v16
	s_waitcnt vmcnt(0) lgkmcnt(0)
	v_mul_f32_e32 v16, v15, v83
	v_fma_f32 v66, v11, v82, -v16
	v_sub_f32_e32 v85, v67, v66
	v_mul_f32_e32 v83, v11, v83
	v_mul_f32_e32 v77, v8, v77
	;; [unrolled: 1-line block ×3, first 2 shown]
	v_fmac_f32_e32 v83, v82, v15
	v_fmac_f32_e32 v77, v76, v12
	v_add_f32_e32 v26, v77, v83
	v_mov_b32_e32 v8, v64
	v_fmac_f32_e32 v8, 0xbe8c1d8e, v26
	v_add_f32_e32 v7, v7, v8
	v_mul_f32_e32 v8, v13, v79
	v_mul_f32_e32 v79, v9, v79
	v_sub_f32_e32 v76, v41, v36
	v_fma_f32 v82, v9, v78, -v8
	v_mul_f32_e32 v8, v14, v81
	v_mul_f32_e32 v81, v10, v81
	v_fmac_f32_e32 v79, v78, v13
	v_add_f32_e32 v27, v49, v39
	v_mul_f32_e32 v70, 0xbe3c28d5, v76
	v_sub_f32_e32 v78, v42, v37
	v_fma_f32 v88, v10, v80, -v8
	v_fmac_f32_e32 v81, v80, v14
	v_fma_f32 v8, v27, s15, -v70
	v_add_f32_e32 v28, v50, v40
	v_mul_f32_e32 v72, 0x3eb8f4ab, v78
	v_sub_f32_e32 v80, v45, v38
	v_add_f32_e32 v8, v24, v8
	v_fma_f32 v9, v28, s4, -v72
	v_add_f32_e32 v29, v51, v44
	v_mul_f32_e32 v89, 0xbf06c442, v80
	v_sub_f32_e32 v90, v48, v43
	v_add_f32_e32 v8, v8, v9
	;; [unrolled: 5-line block ×6, first 2 shown]
	v_fma_f32 v9, v33, s8, -v97
	v_mul_f32_e32 v99, 0x3f7ee86f, v98
	v_add_f32_e32 v9, v8, v9
	v_add_f32_e32 v35, v79, v81
	v_mov_b32_e32 v8, v99
	v_sub_f32_e32 v100, v79, v81
	v_fmac_f32_e32 v8, 0x3dbcf732, v35
	v_add_f32_e32 v34, v82, v88
	v_mul_f32_e32 v101, 0x3f7ee86f, v100
	v_add_f32_e32 v8, v7, v8
	v_fma_f32 v7, v34, s7, -v101
	v_mul_f32_e32 v102, 0xbf06c442, v75
	v_add_f32_e32 v7, v9, v7
	v_mov_b32_e32 v9, v102
	v_mul_f32_e32 v103, 0x3f65296c, v84
	v_fmac_f32_e32 v9, 0xbf59a7d5, v19
	v_mov_b32_e32 v10, v103
	v_add_f32_e32 v9, v0, v9
	v_fmac_f32_e32 v10, 0x3ee437d1, v20
	v_mul_f32_e32 v104, 0xbf7ee86f, v86
	v_add_f32_e32 v9, v9, v10
	v_mov_b32_e32 v10, v104
	v_fmac_f32_e32 v10, 0x3dbcf732, v21
	v_mul_f32_e32 v105, 0x3f4c4adb, v71
	v_add_f32_e32 v9, v9, v10
	v_mov_b32_e32 v10, v105
	;; [unrolled: 4-line block ×5, first 2 shown]
	v_fmac_f32_e32 v10, 0x3f3d2fb0, v26
	v_mul_f32_e32 v109, 0xbf06c442, v76
	v_add_f32_e32 v9, v9, v10
	v_fma_f32 v10, v27, s14, -v109
	v_mul_f32_e32 v110, 0x3f65296c, v78
	v_add_f32_e32 v10, v24, v10
	v_fma_f32 v11, v28, s6, -v110
	;; [unrolled: 3-line block ×7, first 2 shown]
	v_mul_f32_e32 v116, 0xbf763a35, v98
	v_add_f32_e32 v11, v10, v11
	v_mov_b32_e32 v10, v116
	v_fmac_f32_e32 v10, 0xbe8c1d8e, v35
	v_mul_f32_e32 v117, 0xbf763a35, v100
	v_add_f32_e32 v10, v9, v10
	v_fma_f32 v9, v34, s8, -v117
	v_mul_f32_e32 v118, 0xbf4c4adb, v75
	v_add_f32_e32 v9, v11, v9
	v_mov_b32_e32 v11, v118
	v_mul_f32_e32 v119, 0x3f763a35, v84
	v_fmac_f32_e32 v11, 0xbf1a4643, v19
	v_mov_b32_e32 v12, v119
	v_add_f32_e32 v11, v0, v11
	v_fmac_f32_e32 v12, 0xbe8c1d8e, v20
	v_mul_f32_e32 v120, 0xbeb8f4ab, v86
	v_add_f32_e32 v11, v11, v12
	v_mov_b32_e32 v12, v120
	v_fmac_f32_e32 v12, 0x3f6eb680, v21
	v_mul_f32_e32 v121, 0xbf06c442, v71
	v_add_f32_e32 v11, v11, v12
	v_mov_b32_e32 v12, v121
	;; [unrolled: 4-line block ×5, first 2 shown]
	v_fmac_f32_e32 v12, 0xbf7ba420, v26
	v_mul_f32_e32 v125, 0xbf4c4adb, v76
	v_add_f32_e32 v11, v11, v12
	v_fma_f32 v12, v27, s9, -v125
	v_mul_f32_e32 v126, 0x3f763a35, v78
	v_add_f32_e32 v12, v24, v12
	v_fma_f32 v13, v28, s8, -v126
	v_mul_f32_e32 v127, 0xbeb8f4ab, v80
	v_add_f32_e32 v12, v12, v13
	v_fma_f32 v13, v29, s4, -v127
	v_mul_f32_e32 v128, 0xbf06c442, v90
	v_add_f32_e32 v12, v12, v13
	v_fma_f32 v13, v30, s14, -v128
	v_mul_f32_e32 v129, 0x3f7ee86f, v92
	v_add_f32_e32 v12, v12, v13
	v_fma_f32 v13, v31, s7, -v129
	v_mul_f32_e32 v130, 0xbf2c7751, v94
	v_add_f32_e32 v41, v41, v0
	v_add_f32_e32 v12, v12, v13
	v_fma_f32 v13, v32, s5, -v130
	v_mul_f32_e32 v131, 0xbe3c28d5, v96
	v_add_f32_e32 v41, v41, v42
	v_add_f32_e32 v12, v12, v13
	v_fma_f32 v13, v33, s15, -v131
	v_mul_f32_e32 v132, 0x3f65296c, v98
	v_add_f32_e32 v41, v41, v45
	v_add_f32_e32 v13, v12, v13
	v_mov_b32_e32 v12, v132
	v_add_f32_e32 v41, v41, v48
	v_fmac_f32_e32 v12, 0x3ee437d1, v35
	v_mul_f32_e32 v133, 0x3f65296c, v100
	v_add_f32_e32 v41, v41, v54
	v_add_f32_e32 v12, v11, v12
	v_fma_f32 v11, v34, s6, -v133
	v_mul_f32_e32 v134, 0xbf763a35, v75
	v_add_f32_e32 v41, v41, v68
	v_add_f32_e32 v11, v13, v11
	v_mov_b32_e32 v13, v134
	v_mul_f32_e32 v135, 0x3f06c442, v84
	v_add_f32_e32 v41, v41, v77
	v_fmac_f32_e32 v13, 0xbe8c1d8e, v19
	v_mov_b32_e32 v14, v135
	v_add_f32_e32 v41, v41, v79
	v_add_f32_e32 v13, v0, v13
	v_fmac_f32_e32 v14, 0xbf59a7d5, v20
	v_mul_f32_e32 v136, 0x3f2c7751, v86
	v_add_f32_e32 v41, v41, v81
	v_add_f32_e32 v13, v13, v14
	v_mov_b32_e32 v14, v136
	v_add_f32_e32 v41, v83, v41
	v_fmac_f32_e32 v14, 0x3f3d2fb0, v21
	v_mul_f32_e32 v137, 0xbf65296c, v71
	v_add_f32_e32 v41, v65, v41
	v_add_f32_e32 v13, v13, v14
	v_mov_b32_e32 v14, v137
	;; [unrolled: 6-line block ×3, first 2 shown]
	v_add_f32_e32 v38, v38, v41
	v_fmac_f32_e32 v14, 0xbf7ba420, v23
	v_mul_f32_e32 v139, 0x3f7ee86f, v87
	v_add_f32_e32 v37, v37, v38
	v_add_f32_e32 v38, v24, v49
	;; [unrolled: 1-line block ×3, first 2 shown]
	v_mov_b32_e32 v14, v139
	v_add_f32_e32 v38, v38, v50
	v_fmac_f32_e32 v14, 0x3dbcf732, v25
	v_mul_f32_e32 v140, 0xbeb8f4ab, v85
	v_add_f32_e32 v38, v38, v51
	v_add_f32_e32 v13, v13, v14
	v_mov_b32_e32 v14, v140
	v_add_f32_e32 v38, v38, v53
	v_fmac_f32_e32 v14, 0x3f6eb680, v26
	v_mul_f32_e32 v141, 0xbf763a35, v76
	v_add_f32_e32 v38, v38, v55
	v_add_f32_e32 v13, v13, v14
	v_fma_f32 v14, v27, s8, -v141
	v_mul_f32_e32 v142, 0x3f06c442, v78
	v_add_f32_e32 v38, v38, v63
	v_add_f32_e32 v14, v24, v14
	v_fma_f32 v15, v28, s14, -v142
	;; [unrolled: 4-line block ×7, first 2 shown]
	v_mul_f32_e32 v148, 0xbf4c4adb, v98
	v_add_f32_e32 v38, v52, v38
	v_add_f32_e32 v15, v14, v15
	v_mov_b32_e32 v14, v148
	v_add_f32_e32 v38, v47, v38
	v_fmac_f32_e32 v14, 0xbf1a4643, v35
	v_mul_f32_e32 v149, 0xbf4c4adb, v100
	v_add_f32_e32 v38, v44, v38
	v_add_f32_e32 v14, v13, v14
	v_fma_f32 v13, v34, s9, -v149
	v_mul_f32_e32 v150, 0xbf7ee86f, v75
	v_add_f32_e32 v38, v40, v38
	v_add_f32_e32 v13, v15, v13
	v_mov_b32_e32 v15, v150
	v_mul_f32_e32 v151, 0xbe3c28d5, v84
	v_add_f32_e32 v37, v36, v37
	v_add_f32_e32 v36, v39, v38
	v_fma_f32 v38, v19, s15, -v60
	v_fmac_f32_e32 v15, 0x3dbcf732, v19
	v_mov_b32_e32 v16, v151
	v_add_f32_e32 v38, v0, v38
	v_fma_f32 v39, v20, s4, -v59
	v_add_f32_e32 v15, v0, v15
	v_fmac_f32_e32 v16, 0xbf7ba420, v20
	v_mul_f32_e32 v152, 0x3f763a35, v86
	v_add_f32_e32 v38, v38, v39
	v_fma_f32 v39, v21, s14, -v58
	v_add_f32_e32 v15, v15, v16
	v_mov_b32_e32 v16, v152
	v_add_f32_e32 v38, v38, v39
	v_fma_f32 v39, v22, s5, -v57
	v_fmac_f32_e32 v16, 0xbe8c1d8e, v21
	v_mul_f32_e32 v153, 0x3eb8f4ab, v71
	v_add_f32_e32 v38, v38, v39
	v_fma_f32 v39, v23, s9, -v56
	v_add_f32_e32 v15, v15, v16
	v_mov_b32_e32 v16, v153
	v_add_f32_e32 v38, v38, v39
	v_fma_f32 v39, v25, s6, -v61
	v_fmac_f32_e32 v16, 0x3f6eb680, v22
	v_mul_f32_e32 v154, 0xbf65296c, v69
	v_add_f32_e32 v38, v38, v39
	v_fma_f32 v39, v26, s8, -v64
	v_fmac_f32_e32 v70, 0xbf7ba420, v27
	v_add_f32_e32 v15, v15, v16
	v_mov_b32_e32 v16, v154
	v_add_f32_e32 v38, v38, v39
	v_add_f32_e32 v39, v24, v70
	v_fmac_f32_e32 v72, 0x3f6eb680, v28
	v_fmac_f32_e32 v16, 0x3ee437d1, v23
	v_mul_f32_e32 v155, 0xbf06c442, v87
	v_add_f32_e32 v39, v39, v72
	v_fmac_f32_e32 v89, 0xbf59a7d5, v29
	v_add_f32_e32 v15, v15, v16
	v_mov_b32_e32 v16, v155
	v_add_f32_e32 v39, v39, v89
	v_fmac_f32_e32 v91, 0x3f3d2fb0, v30
	v_fmac_f32_e32 v16, 0xbf59a7d5, v25
	v_mul_f32_e32 v156, 0x3f4c4adb, v85
	v_add_f32_e32 v39, v39, v91
	v_fmac_f32_e32 v93, 0xbf1a4643, v31
	v_add_f32_e32 v15, v15, v16
	v_mov_b32_e32 v16, v156
	v_add_f32_e32 v39, v39, v93
	v_fmac_f32_e32 v95, 0x3ee437d1, v32
	v_fmac_f32_e32 v16, 0xbf1a4643, v26
	v_mul_f32_e32 v157, 0xbf7ee86f, v76
	v_add_f32_e32 v39, v39, v95
	v_fmac_f32_e32 v97, 0xbe8c1d8e, v33
	v_add_f32_e32 v15, v15, v16
	v_fma_f32 v16, v27, s7, -v157
	v_mul_f32_e32 v158, 0xbe3c28d5, v78
	v_add_f32_e32 v40, v39, v97
	v_fma_f32 v39, v35, s7, -v99
	v_fmac_f32_e32 v101, 0x3dbcf732, v34
	v_add_f32_e32 v16, v24, v16
	v_fma_f32 v17, v28, s15, -v158
	v_mul_f32_e32 v159, 0x3f763a35, v80
	v_add_f32_e32 v39, v38, v39
	v_add_f32_e32 v38, v40, v101
	v_fma_f32 v40, v19, s14, -v102
	v_add_f32_e32 v16, v16, v17
	v_fma_f32 v17, v29, s8, -v159
	v_mul_f32_e32 v160, 0x3eb8f4ab, v90
	v_add_f32_e32 v40, v0, v40
	v_fma_f32 v41, v20, s6, -v103
	v_add_f32_e32 v16, v16, v17
	v_fma_f32 v17, v30, s4, -v160
	v_mul_f32_e32 v161, 0xbf65296c, v92
	;; [unrolled: 5-line block ×5, first 2 shown]
	v_add_f32_e32 v40, v40, v41
	v_fma_f32 v41, v25, s15, -v107
	v_add_f32_e32 v17, v16, v17
	v_mov_b32_e32 v16, v164
	v_add_f32_e32 v40, v40, v41
	v_fma_f32 v41, v26, s5, -v108
	v_fmac_f32_e32 v109, 0xbf59a7d5, v27
	v_fmac_f32_e32 v16, 0x3f3d2fb0, v35
	v_mul_f32_e32 v165, 0x3f2c7751, v100
	v_add_f32_e32 v40, v40, v41
	v_add_f32_e32 v41, v24, v109
	v_fmac_f32_e32 v110, 0x3ee437d1, v28
	v_add_f32_e32 v16, v15, v16
	v_fma_f32 v15, v34, s5, -v165
	v_mul_f32_e32 v166, 0xbf65296c, v75
	v_add_f32_e32 v41, v41, v110
	v_fmac_f32_e32 v111, 0x3dbcf732, v29
	v_add_f32_e32 v15, v17, v15
	v_mov_b32_e32 v17, v166
	v_mul_f32_e32 v167, 0xbf4c4adb, v84
	v_add_f32_e32 v41, v41, v111
	v_fmac_f32_e32 v112, 0xbf1a4643, v30
	v_fmac_f32_e32 v17, 0x3ee437d1, v19
	v_mov_b32_e32 v18, v167
	v_add_f32_e32 v41, v41, v112
	v_fmac_f32_e32 v113, 0x3f6eb680, v31
	v_add_f32_e32 v17, v0, v17
	v_fmac_f32_e32 v18, 0xbf1a4643, v20
	v_mul_f32_e32 v168, 0x3e3c28d5, v86
	v_add_f32_e32 v41, v41, v113
	v_fmac_f32_e32 v114, 0xbf7ba420, v32
	v_add_f32_e32 v17, v17, v18
	v_mov_b32_e32 v18, v168
	v_add_f32_e32 v41, v41, v114
	v_fmac_f32_e32 v115, 0x3f3d2fb0, v33
	v_fmac_f32_e32 v18, 0xbf7ba420, v21
	v_mul_f32_e32 v169, 0x3f763a35, v71
	v_add_f32_e32 v42, v41, v115
	v_fma_f32 v41, v35, s8, -v116
	v_fmac_f32_e32 v117, 0xbe8c1d8e, v34
	v_add_f32_e32 v17, v17, v18
	v_mov_b32_e32 v18, v169
	v_add_f32_e32 v41, v40, v41
	v_add_f32_e32 v40, v42, v117
	v_fma_f32 v42, v19, s9, -v118
	v_fmac_f32_e32 v18, 0xbe8c1d8e, v22
	v_mul_f32_e32 v170, 0x3f2c7751, v69
	v_add_f32_e32 v42, v0, v42
	v_fma_f32 v43, v20, s8, -v119
	v_add_f32_e32 v17, v17, v18
	v_mov_b32_e32 v18, v170
	v_add_f32_e32 v42, v42, v43
	v_fma_f32 v43, v21, s4, -v120
	v_fmac_f32_e32 v18, 0x3f3d2fb0, v23
	v_mul_f32_e32 v171, 0xbeb8f4ab, v87
	v_add_f32_e32 v42, v42, v43
	v_fma_f32 v43, v22, s14, -v121
	v_add_f32_e32 v17, v17, v18
	v_mov_b32_e32 v18, v171
	;; [unrolled: 8-line block ×3, first 2 shown]
	v_add_f32_e32 v42, v42, v43
	v_fma_f32 v43, v26, s15, -v124
	v_fmac_f32_e32 v125, 0xbf1a4643, v27
	v_fmac_f32_e32 v18, 0x3dbcf732, v26
	v_mul_f32_e32 v173, 0xbf65296c, v76
	v_add_f32_e32 v42, v42, v43
	v_add_f32_e32 v43, v24, v125
	v_fmac_f32_e32 v126, 0xbe8c1d8e, v28
	v_add_f32_e32 v17, v17, v18
	v_fma_f32 v18, v27, s6, -v173
	v_mul_f32_e32 v174, 0xbf4c4adb, v78
	v_add_f32_e32 v43, v43, v126
	v_fmac_f32_e32 v127, 0x3f6eb680, v29
	v_add_f32_e32 v18, v24, v18
	v_fma_f32 v73, v28, s9, -v174
	v_mul_f32_e32 v175, 0x3e3c28d5, v80
	;; [unrolled: 5-line block ×6, first 2 shown]
	v_add_f32_e32 v44, v43, v131
	v_fma_f32 v43, v35, s6, -v132
	v_fmac_f32_e32 v133, 0x3ee437d1, v34
	v_add_f32_e32 v18, v18, v73
	v_fma_f32 v73, v33, s7, -v179
	v_mul_f32_e32 v180, 0xbf06c442, v98
	v_add_f32_e32 v43, v42, v43
	v_add_f32_e32 v42, v44, v133
	v_fma_f32 v44, v19, s8, -v134
	v_add_f32_e32 v73, v18, v73
	v_mov_b32_e32 v18, v180
	v_add_f32_e32 v44, v0, v44
	v_fma_f32 v45, v20, s14, -v135
	v_fmac_f32_e32 v18, 0xbf59a7d5, v35
	v_mul_f32_e32 v181, 0xbf06c442, v100
	v_add_f32_e32 v44, v44, v45
	v_fma_f32 v45, v21, s5, -v136
	v_add_f32_e32 v18, v17, v18
	v_fma_f32 v17, v34, s14, -v181
	v_mul_f32_e32 v182, 0xbf2c7751, v75
	v_add_f32_e32 v44, v44, v45
	v_fma_f32 v45, v22, s6, -v137
	v_add_f32_e32 v17, v73, v17
	v_mov_b32_e32 v73, v182
	v_mul_f32_e32 v183, 0xbf7ee86f, v84
	v_add_f32_e32 v44, v44, v45
	v_fma_f32 v45, v23, s15, -v138
	v_fmac_f32_e32 v73, 0x3f3d2fb0, v19
	v_mov_b32_e32 v74, v183
	v_add_f32_e32 v44, v44, v45
	v_fma_f32 v45, v25, s7, -v139
	v_add_f32_e32 v73, v0, v73
	v_fmac_f32_e32 v74, 0x3dbcf732, v20
	v_mul_f32_e32 v184, 0xbf4c4adb, v86
	v_add_f32_e32 v44, v44, v45
	v_fma_f32 v45, v26, s4, -v140
	v_fmac_f32_e32 v141, 0xbe8c1d8e, v27
	v_add_f32_e32 v73, v73, v74
	v_mov_b32_e32 v74, v184
	v_add_f32_e32 v44, v44, v45
	v_add_f32_e32 v45, v24, v141
	v_fmac_f32_e32 v142, 0xbf59a7d5, v28
	v_fmac_f32_e32 v74, 0xbf1a4643, v21
	v_mul_f32_e32 v185, 0xbe3c28d5, v71
	v_add_f32_e32 v45, v45, v142
	v_fmac_f32_e32 v143, 0x3f3d2fb0, v29
	v_add_f32_e32 v73, v73, v74
	v_mov_b32_e32 v74, v185
	v_add_f32_e32 v45, v45, v143
	v_fmac_f32_e32 v144, 0x3ee437d1, v30
	v_fmac_f32_e32 v74, 0xbf7ba420, v22
	v_mul_f32_e32 v186, 0x3f06c442, v69
	v_add_f32_e32 v45, v45, v144
	v_fmac_f32_e32 v145, 0xbf7ba420, v31
	v_add_f32_e32 v73, v73, v74
	v_mov_b32_e32 v74, v186
	;; [unrolled: 8-line block ×3, first 2 shown]
	v_add_f32_e32 v46, v45, v147
	v_fma_f32 v45, v35, s9, -v148
	v_fmac_f32_e32 v149, 0xbf1a4643, v34
	v_fmac_f32_e32 v74, 0xbe8c1d8e, v25
	v_mul_f32_e32 v188, 0x3f65296c, v85
	v_add_f32_e32 v45, v44, v45
	v_add_f32_e32 v44, v46, v149
	v_fma_f32 v46, v19, s7, -v150
	v_add_f32_e32 v73, v73, v74
	v_mov_b32_e32 v74, v188
	v_add_f32_e32 v46, v0, v46
	v_fma_f32 v47, v20, s15, -v151
	v_fmac_f32_e32 v74, 0x3ee437d1, v26
	v_mul_f32_e32 v189, 0xbf2c7751, v76
	v_add_f32_e32 v46, v46, v47
	v_fma_f32 v47, v21, s8, -v152
	v_add_f32_e32 v73, v73, v74
	v_fma_f32 v74, v27, s5, -v189
	v_mul_f32_e32 v190, 0xbf7ee86f, v78
	v_add_f32_e32 v46, v46, v47
	v_fma_f32 v47, v22, s4, -v153
	v_add_f32_e32 v74, v24, v74
	v_fma_f32 v191, v28, s7, -v190
	;; [unrolled: 2-line block ×3, first 2 shown]
	v_add_f32_e32 v74, v74, v191
	v_mul_f32_e32 v191, 0xbf4c4adb, v80
	v_add_f32_e32 v46, v46, v47
	v_fma_f32 v47, v25, s14, -v155
	v_fma_f32 v192, v29, s9, -v191
	v_add_f32_e32 v46, v46, v47
	v_fma_f32 v47, v26, s9, -v156
	v_fmac_f32_e32 v157, 0x3dbcf732, v27
	v_add_f32_e32 v74, v74, v192
	v_mul_f32_e32 v192, 0xbe3c28d5, v90
	v_add_f32_e32 v46, v46, v47
	v_add_f32_e32 v47, v24, v157
	v_fmac_f32_e32 v158, 0xbf7ba420, v28
	v_fma_f32 v193, v30, s15, -v192
	v_add_f32_e32 v47, v47, v158
	v_fmac_f32_e32 v159, 0xbe8c1d8e, v29
	v_add_f32_e32 v74, v74, v193
	v_mul_f32_e32 v193, 0x3f06c442, v92
	v_add_f32_e32 v47, v47, v159
	v_fmac_f32_e32 v160, 0x3f6eb680, v30
	v_fma_f32 v194, v31, s14, -v193
	v_add_f32_e32 v47, v47, v160
	v_fmac_f32_e32 v161, 0x3ee437d1, v31
	v_add_f32_e32 v74, v74, v194
	v_mul_f32_e32 v194, 0x3f763a35, v94
	v_add_f32_e32 v47, v47, v161
	v_fmac_f32_e32 v162, 0xbf59a7d5, v32
	v_fma_f32 v195, v32, s8, -v194
	v_add_f32_e32 v47, v47, v162
	v_fmac_f32_e32 v163, 0xbf1a4643, v33
	v_add_f32_e32 v74, v74, v195
	v_mul_f32_e32 v195, 0x3f65296c, v96
	v_add_f32_e32 v48, v47, v163
	v_fma_f32 v47, v35, s5, -v164
	v_fmac_f32_e32 v165, 0x3f3d2fb0, v34
	v_fma_f32 v196, v33, s6, -v195
	v_mul_f32_e32 v197, 0x3eb8f4ab, v98
	v_add_f32_e32 v47, v46, v47
	v_add_f32_e32 v46, v48, v165
	v_fma_f32 v48, v19, s6, -v166
	v_add_f32_e32 v196, v74, v196
	v_mov_b32_e32 v74, v197
	v_add_f32_e32 v48, v0, v48
	v_fma_f32 v49, v20, s9, -v167
	v_fmac_f32_e32 v74, 0x3f6eb680, v35
	v_mul_f32_e32 v198, 0x3eb8f4ab, v100
	v_add_f32_e32 v48, v48, v49
	v_fma_f32 v49, v21, s15, -v168
	v_add_f32_e32 v74, v73, v74
	v_fma_f32 v73, v34, s4, -v198
	;; [unrolled: 2-line block ×3, first 2 shown]
	v_add_f32_e32 v73, v196, v73
	v_mul_f32_e32 v196, 0xbeb8f4ab, v75
	v_add_f32_e32 v48, v48, v49
	v_fma_f32 v49, v23, s5, -v170
	v_mov_b32_e32 v75, v196
	v_mul_f32_e32 v84, 0xbf2c7751, v84
	v_add_f32_e32 v48, v48, v49
	v_fma_f32 v49, v25, s4, -v171
	v_fmac_f32_e32 v75, 0x3f6eb680, v19
	v_mov_b32_e32 v199, v84
	v_add_f32_e32 v48, v48, v49
	v_fma_f32 v49, v26, s7, -v172
	v_fmac_f32_e32 v173, 0x3ee437d1, v27
	v_add_f32_e32 v75, v0, v75
	v_fmac_f32_e32 v199, 0x3f3d2fb0, v20
	v_mul_f32_e32 v86, 0xbf65296c, v86
	v_add_f32_e32 v48, v48, v49
	v_add_f32_e32 v49, v24, v173
	v_fmac_f32_e32 v174, 0xbf1a4643, v28
	v_add_f32_e32 v75, v75, v199
	v_mov_b32_e32 v199, v86
	v_add_f32_e32 v49, v49, v174
	v_fmac_f32_e32 v175, 0xbf7ba420, v29
	v_fmac_f32_e32 v199, 0x3ee437d1, v21
	v_mul_f32_e32 v71, 0xbf7ee86f, v71
	v_add_f32_e32 v49, v49, v175
	v_fmac_f32_e32 v176, 0xbe8c1d8e, v30
	v_add_f32_e32 v75, v75, v199
	v_mov_b32_e32 v199, v71
	v_add_f32_e32 v49, v49, v176
	v_fmac_f32_e32 v177, 0x3f3d2fb0, v31
	v_fmac_f32_e32 v199, 0x3dbcf732, v22
	v_mul_f32_e32 v69, 0xbf763a35, v69
	;; [unrolled: 8-line block ×3, first 2 shown]
	v_add_f32_e32 v50, v49, v179
	v_fma_f32 v49, v35, s14, -v180
	v_fmac_f32_e32 v181, 0xbf59a7d5, v34
	v_add_f32_e32 v75, v75, v199
	v_mov_b32_e32 v199, v87
	v_add_f32_e32 v49, v48, v49
	v_add_f32_e32 v48, v50, v181
	v_fma_f32 v50, v19, s5, -v182
	v_fma_f32 v19, v19, s4, -v196
	v_fmac_f32_e32 v199, 0xbf1a4643, v25
	v_mul_f32_e32 v85, 0xbf06c442, v85
	v_add_f32_e32 v50, v0, v50
	v_add_f32_e32 v0, v0, v19
	v_fma_f32 v19, v20, s5, -v84
	v_add_f32_e32 v75, v75, v199
	v_mov_b32_e32 v199, v85
	v_add_f32_e32 v0, v0, v19
	v_fma_f32 v19, v21, s6, -v86
	v_fmac_f32_e32 v199, 0xbf59a7d5, v26
	v_add_f32_e32 v0, v0, v19
	v_fma_f32 v19, v22, s7, -v71
	v_add_f32_e32 v75, v75, v199
	v_mul_f32_e32 v199, 0xbeb8f4ab, v76
	v_add_f32_e32 v0, v0, v19
	v_fma_f32 v19, v23, s8, -v69
	v_fma_f32 v76, v27, s4, -v199
	v_mul_f32_e32 v78, 0xbf2c7751, v78
	v_add_f32_e32 v0, v0, v19
	v_fma_f32 v19, v25, s9, -v87
	v_add_f32_e32 v76, v24, v76
	v_fma_f32 v200, v28, s5, -v78
	v_mul_f32_e32 v80, 0xbf65296c, v80
	v_mul_f32_e32 v98, 0xbe3c28d5, v98
	v_add_f32_e32 v0, v0, v19
	v_fma_f32 v19, v26, s14, -v85
	v_add_f32_e32 v76, v76, v200
	v_fma_f32 v200, v29, s6, -v80
	v_mul_f32_e32 v90, 0xbf7ee86f, v90
	v_add_f32_e32 v0, v0, v19
	v_fma_f32 v19, v35, s15, -v98
	v_fmac_f32_e32 v199, 0x3f6eb680, v27
	v_add_f32_e32 v76, v76, v200
	v_fma_f32 v200, v30, s7, -v90
	v_mul_f32_e32 v92, 0xbf763a35, v92
	v_fma_f32 v51, v20, s7, -v183
	v_add_f32_e32 v20, v0, v19
	v_add_f32_e32 v0, v24, v199
	v_fmac_f32_e32 v78, 0x3f3d2fb0, v28
	v_add_f32_e32 v76, v76, v200
	v_fma_f32 v200, v31, s8, -v92
	v_mul_f32_e32 v94, 0xbf4c4adb, v94
	v_add_f32_e32 v0, v0, v78
	v_fmac_f32_e32 v80, 0x3ee437d1, v29
	v_add_f32_e32 v76, v76, v200
	v_fma_f32 v200, v32, s9, -v94
	v_mul_f32_e32 v96, 0xbf06c442, v96
	v_add_f32_e32 v50, v50, v51
	v_fma_f32 v51, v21, s9, -v184
	v_add_f32_e32 v0, v0, v80
	v_fmac_f32_e32 v90, 0x3dbcf732, v30
	v_add_f32_e32 v76, v76, v200
	v_fma_f32 v200, v33, s14, -v96
	v_add_f32_e32 v50, v50, v51
	v_fma_f32 v51, v22, s15, -v185
	v_add_f32_e32 v0, v0, v90
	v_fmac_f32_e32 v92, 0xbe8c1d8e, v31
	v_add_f32_e32 v200, v76, v200
	v_mov_b32_e32 v76, v98
	v_add_f32_e32 v50, v50, v51
	v_fma_f32 v51, v23, s14, -v186
	v_add_f32_e32 v0, v0, v92
	v_fmac_f32_e32 v94, 0xbf1a4643, v32
	v_fmac_f32_e32 v76, 0xbf7ba420, v35
	v_mul_f32_e32 v100, 0xbe3c28d5, v100
	v_add_f32_e32 v50, v50, v51
	v_fma_f32 v51, v25, s8, -v187
	v_add_f32_e32 v0, v0, v94
	v_fmac_f32_e32 v96, 0xbf59a7d5, v33
	v_add_f32_e32 v76, v75, v76
	v_fma_f32 v75, v34, s15, -v100
	v_add_f32_e32 v50, v50, v51
	v_fma_f32 v51, v26, s6, -v188
	v_add_f32_e32 v0, v0, v96
	v_fmac_f32_e32 v100, 0xbf7ba420, v34
	v_add_f32_e32 v50, v50, v51
	v_fma_f32 v51, v35, s4, -v197
	v_fmac_f32_e32 v189, 0x3f3d2fb0, v27
	v_add_f32_e32 v19, v0, v100
	v_mov_b32_e32 v0, s11
	v_add_f32_e32 v51, v50, v51
	v_add_f32_e32 v50, v24, v189
	v_fmac_f32_e32 v190, 0x3dbcf732, v28
	v_addc_co_u32_e32 v6, vcc, v0, v6, vcc
	v_lshlrev_b64 v[0:1], 3, v[1:2]
	v_add_f32_e32 v50, v50, v190
	v_fmac_f32_e32 v191, 0xbf1a4643, v29
	v_add_f32_e32 v50, v50, v191
	v_fmac_f32_e32 v192, 0xbf7ba420, v30
	v_add_co_u32_e32 v2, vcc, v5, v0
	v_add_f32_e32 v50, v50, v192
	v_fmac_f32_e32 v193, 0xbf59a7d5, v31
	v_addc_co_u32_e32 v5, vcc, v6, v1, vcc
	v_lshlrev_b64 v[0:1], 3, v[3:4]
	v_add_f32_e32 v50, v50, v193
	v_fmac_f32_e32 v194, 0xbe8c1d8e, v32
	v_add_f32_e32 v50, v50, v194
	v_fmac_f32_e32 v195, 0x3ee437d1, v33
	v_add_co_u32_e32 v0, vcc, v2, v0
	v_add_f32_e32 v50, v50, v195
	v_fmac_f32_e32 v198, 0x3f6eb680, v34
	v_addc_co_u32_e32 v1, vcc, v5, v1, vcc
	v_add_f32_e32 v75, v200, v75
	v_add_f32_e32 v50, v50, v198
	global_store_dwordx2 v[0:1], v[36:37], off
	global_store_dwordx2 v[0:1], v[75:76], off offset:136
	global_store_dwordx2 v[0:1], v[73:74], off offset:272
	;; [unrolled: 1-line block ×16, first 2 shown]
.LBB0_14:
	s_endpgm
	.section	.rodata,"a",@progbits
	.p2align	6, 0x0
	.amdhsa_kernel fft_rtc_fwd_len289_factors_17_17_wgs_119_tpt_17_halfLds_sp_op_CI_CI_unitstride_sbrr_dirReg
		.amdhsa_group_segment_fixed_size 0
		.amdhsa_private_segment_fixed_size 0
		.amdhsa_kernarg_size 104
		.amdhsa_user_sgpr_count 6
		.amdhsa_user_sgpr_private_segment_buffer 1
		.amdhsa_user_sgpr_dispatch_ptr 0
		.amdhsa_user_sgpr_queue_ptr 0
		.amdhsa_user_sgpr_kernarg_segment_ptr 1
		.amdhsa_user_sgpr_dispatch_id 0
		.amdhsa_user_sgpr_flat_scratch_init 0
		.amdhsa_user_sgpr_private_segment_size 0
		.amdhsa_uses_dynamic_stack 0
		.amdhsa_system_sgpr_private_segment_wavefront_offset 0
		.amdhsa_system_sgpr_workgroup_id_x 1
		.amdhsa_system_sgpr_workgroup_id_y 0
		.amdhsa_system_sgpr_workgroup_id_z 0
		.amdhsa_system_sgpr_workgroup_info 0
		.amdhsa_system_vgpr_workitem_id 0
		.amdhsa_next_free_vgpr 201
		.amdhsa_next_free_sgpr 28
		.amdhsa_reserve_vcc 1
		.amdhsa_reserve_flat_scratch 0
		.amdhsa_float_round_mode_32 0
		.amdhsa_float_round_mode_16_64 0
		.amdhsa_float_denorm_mode_32 3
		.amdhsa_float_denorm_mode_16_64 3
		.amdhsa_dx10_clamp 1
		.amdhsa_ieee_mode 1
		.amdhsa_fp16_overflow 0
		.amdhsa_exception_fp_ieee_invalid_op 0
		.amdhsa_exception_fp_denorm_src 0
		.amdhsa_exception_fp_ieee_div_zero 0
		.amdhsa_exception_fp_ieee_overflow 0
		.amdhsa_exception_fp_ieee_underflow 0
		.amdhsa_exception_fp_ieee_inexact 0
		.amdhsa_exception_int_div_zero 0
	.end_amdhsa_kernel
	.text
.Lfunc_end0:
	.size	fft_rtc_fwd_len289_factors_17_17_wgs_119_tpt_17_halfLds_sp_op_CI_CI_unitstride_sbrr_dirReg, .Lfunc_end0-fft_rtc_fwd_len289_factors_17_17_wgs_119_tpt_17_halfLds_sp_op_CI_CI_unitstride_sbrr_dirReg
                                        ; -- End function
	.section	.AMDGPU.csdata,"",@progbits
; Kernel info:
; codeLenInByte = 12184
; NumSgprs: 32
; NumVgprs: 201
; ScratchSize: 0
; MemoryBound: 0
; FloatMode: 240
; IeeeMode: 1
; LDSByteSize: 0 bytes/workgroup (compile time only)
; SGPRBlocks: 3
; VGPRBlocks: 50
; NumSGPRsForWavesPerEU: 32
; NumVGPRsForWavesPerEU: 201
; Occupancy: 1
; WaveLimiterHint : 1
; COMPUTE_PGM_RSRC2:SCRATCH_EN: 0
; COMPUTE_PGM_RSRC2:USER_SGPR: 6
; COMPUTE_PGM_RSRC2:TRAP_HANDLER: 0
; COMPUTE_PGM_RSRC2:TGID_X_EN: 1
; COMPUTE_PGM_RSRC2:TGID_Y_EN: 0
; COMPUTE_PGM_RSRC2:TGID_Z_EN: 0
; COMPUTE_PGM_RSRC2:TIDIG_COMP_CNT: 0
	.type	__hip_cuid_7d5fc0bb34e5920c,@object ; @__hip_cuid_7d5fc0bb34e5920c
	.section	.bss,"aw",@nobits
	.globl	__hip_cuid_7d5fc0bb34e5920c
__hip_cuid_7d5fc0bb34e5920c:
	.byte	0                               ; 0x0
	.size	__hip_cuid_7d5fc0bb34e5920c, 1

	.ident	"AMD clang version 19.0.0git (https://github.com/RadeonOpenCompute/llvm-project roc-6.4.0 25133 c7fe45cf4b819c5991fe208aaa96edf142730f1d)"
	.section	".note.GNU-stack","",@progbits
	.addrsig
	.addrsig_sym __hip_cuid_7d5fc0bb34e5920c
	.amdgpu_metadata
---
amdhsa.kernels:
  - .args:
      - .actual_access:  read_only
        .address_space:  global
        .offset:         0
        .size:           8
        .value_kind:     global_buffer
      - .offset:         8
        .size:           8
        .value_kind:     by_value
      - .actual_access:  read_only
        .address_space:  global
        .offset:         16
        .size:           8
        .value_kind:     global_buffer
      - .actual_access:  read_only
        .address_space:  global
        .offset:         24
        .size:           8
        .value_kind:     global_buffer
      - .actual_access:  read_only
        .address_space:  global
        .offset:         32
        .size:           8
        .value_kind:     global_buffer
      - .offset:         40
        .size:           8
        .value_kind:     by_value
      - .actual_access:  read_only
        .address_space:  global
        .offset:         48
        .size:           8
        .value_kind:     global_buffer
      - .actual_access:  read_only
        .address_space:  global
        .offset:         56
        .size:           8
        .value_kind:     global_buffer
      - .offset:         64
        .size:           4
        .value_kind:     by_value
      - .actual_access:  read_only
        .address_space:  global
        .offset:         72
        .size:           8
        .value_kind:     global_buffer
      - .actual_access:  read_only
        .address_space:  global
        .offset:         80
        .size:           8
        .value_kind:     global_buffer
      - .actual_access:  read_only
        .address_space:  global
        .offset:         88
        .size:           8
        .value_kind:     global_buffer
      - .actual_access:  write_only
        .address_space:  global
        .offset:         96
        .size:           8
        .value_kind:     global_buffer
    .group_segment_fixed_size: 0
    .kernarg_segment_align: 8
    .kernarg_segment_size: 104
    .language:       OpenCL C
    .language_version:
      - 2
      - 0
    .max_flat_workgroup_size: 119
    .name:           fft_rtc_fwd_len289_factors_17_17_wgs_119_tpt_17_halfLds_sp_op_CI_CI_unitstride_sbrr_dirReg
    .private_segment_fixed_size: 0
    .sgpr_count:     32
    .sgpr_spill_count: 0
    .symbol:         fft_rtc_fwd_len289_factors_17_17_wgs_119_tpt_17_halfLds_sp_op_CI_CI_unitstride_sbrr_dirReg.kd
    .uniform_work_group_size: 1
    .uses_dynamic_stack: false
    .vgpr_count:     201
    .vgpr_spill_count: 0
    .wavefront_size: 64
amdhsa.target:   amdgcn-amd-amdhsa--gfx906
amdhsa.version:
  - 1
  - 2
...

	.end_amdgpu_metadata
